;; amdgpu-corpus repo=ggml-org/llama.cpp kind=compiled arch=gfx1201 opt=O3
	.amdgcn_target "amdgcn-amd-amdhsa--gfx1201"
	.amdhsa_code_object_version 6
	.section	.text._ZL25dequantize_block_q8_0_f16ILb0EEvPKvP6__halfl,"axG",@progbits,_ZL25dequantize_block_q8_0_f16ILb0EEvPKvP6__halfl,comdat
	.globl	_ZL25dequantize_block_q8_0_f16ILb0EEvPKvP6__halfl ; -- Begin function _ZL25dequantize_block_q8_0_f16ILb0EEvPKvP6__halfl
	.p2align	8
	.type	_ZL25dequantize_block_q8_0_f16ILb0EEvPKvP6__halfl,@function
_ZL25dequantize_block_q8_0_f16ILb0EEvPKvP6__halfl: ; @_ZL25dequantize_block_q8_0_f16ILb0EEvPKvP6__halfl
; %bb.0:
	s_load_b128 s[0:3], s[0:1], 0x0
	s_mul_i32 s4, ttmp9, 0x220
	s_mov_b32 s5, 0
	v_lshlrev_b32_e32 v1, 2, v0
	s_lshl_b64 s[6:7], s[4:5], 2
	v_and_b32_e32 v23, 15, v0
	v_lshlrev_b32_e32 v2, 1, v0
	v_lshrrev_b32_e32 v22, 4, v0
	v_add_nc_u32_e32 v21, 0x400, v1
	s_lshl_b32 s4, ttmp9, 11
	v_lshlrev_b32_e32 v0, 1, v23
	v_add_nc_u32_e32 v23, 64, v2
	v_add_nc_u32_e32 v24, 0x80, v2
	;; [unrolled: 1-line block ×9, first 2 shown]
	s_wait_kmcnt 0x0
	s_add_nc_u64 s[0:1], s[0:1], s[6:7]
	v_add_nc_u32_e32 v32, 0x280, v2
	s_clause 0x10
	global_load_b32 v3, v1, s[0:1]
	global_load_b32 v4, v1, s[0:1] offset:128
	global_load_b32 v5, v1, s[0:1] offset:256
	;; [unrolled: 1-line block ×16, first 2 shown]
	v_add_nc_u32_e32 v33, 0x2c0, v2
	v_add_nc_u32_e32 v34, 0x300, v2
	;; [unrolled: 1-line block ×14, first 2 shown]
	v_lshrrev_b32_e32 v23, 5, v23
	v_lshrrev_b32_e32 v24, 5, v24
	;; [unrolled: 1-line block ×24, first 2 shown]
	v_mul_u32_u24_e32 v20, 34, v22
	v_mad_u32_u24 v22, v22, 34, v0
	v_mul_u32_u24_e32 v50, 34, v23
	v_mad_u32_u24 v23, v23, 34, v0
	;; [unrolled: 2-line block ×25, first 2 shown]
	v_add_nc_u32_e32 v47, 0x640, v2
	v_add_nc_u32_e32 v48, 0x680, v2
	;; [unrolled: 1-line block ×3, first 2 shown]
	s_lshl_b64 s[0:1], s[4:5], 1
	s_wait_loadcnt 0xf
	ds_store_2addr_b32 v1, v3, v4 offset1:32
	s_wait_loadcnt 0xd
	ds_store_2addr_b32 v1, v5, v6 offset0:64 offset1:96
	s_wait_loadcnt 0xb
	ds_store_2addr_b32 v1, v7, v8 offset0:128 offset1:160
	;; [unrolled: 2-line block ×3, first 2 shown]
	s_wait_loadcnt 0x7
	ds_store_2addr_b32 v21, v11, v12 offset1:32
	s_wait_loadcnt 0x5
	ds_store_2addr_b32 v21, v13, v14 offset0:64 offset1:96
	s_wait_loadcnt 0x3
	ds_store_2addr_b32 v21, v15, v16 offset0:128 offset1:160
	;; [unrolled: 2-line block ×3, first 2 shown]
	s_wait_loadcnt 0x0
	ds_store_b32 v1, v19 offset:2048
	s_wait_dscnt 0x0
	s_barrier_signal -1
	s_barrier_wait -1
	global_inv scope:SCOPE_SE
	ds_load_u16 v3, v20
	ds_load_u16 v4, v22 offset:2
	ds_load_u16 v5, v50
	ds_load_u16 v6, v23 offset:2
	;; [unrolled: 2-line block ×25, first 2 shown]
	s_wait_dscnt 0x30
	v_bfe_i32 v56, v4, 0, 8
	v_ashrrev_i16 v4, 8, v4
	s_wait_dscnt 0x2e
	v_bfe_i32 v57, v6, 0, 8
	v_ashrrev_i16 v6, 8, v6
	;; [unrolled: 3-line block ×16, first 2 shown]
	v_cvt_f16_i16_e32 v4, v4
	v_cvt_f16_i16_e32 v56, v56
	;; [unrolled: 1-line block ×10, first 2 shown]
	v_mul_u32_u24_e32 v3, 0x10001, v3
	v_cvt_f16_i16_e32 v14, v14
	v_cvt_f16_i16_e32 v61, v61
	;; [unrolled: 1-line block ×22, first 2 shown]
	v_pack_b32_f16 v4, v56, v4
	v_lshrrev_b32_e32 v47, 5, v47
	v_mul_u32_u24_e32 v5, 0x10001, v5
	v_pack_b32_f16 v6, v57, v6
	v_mul_u32_u24_e32 v7, 0x10001, v7
	v_pack_b32_f16 v8, v58, v8
	v_lshrrev_b32_e32 v48, 5, v48
	v_mul_u32_u24_e32 v9, 0x10001, v9
	v_pack_b32_f16 v10, v59, v10
	v_mul_u32_u24_e32 v11, 0x10001, v11
	v_pack_b32_f16 v12, v60, v12
	v_lshrrev_b32_e32 v49, 5, v49
	v_mul_u32_u24_e32 v13, 0x10001, v13
	v_mul_u32_u24_e32 v15, 0x10001, v15
	;; [unrolled: 1-line block ×11, first 2 shown]
	v_pack_b32_f16 v14, v61, v14
	v_pack_b32_f16 v16, v62, v16
	;; [unrolled: 1-line block ×11, first 2 shown]
	v_pk_mul_f16 v3, v4, v3
	v_mul_u32_u24_e32 v74, 34, v47
	v_pk_mul_f16 v4, v6, v5
	v_mad_u32_u24 v47, v47, 34, v0
	s_wait_dscnt 0x10
	v_bfe_i32 v72, v36, 0, 8
	v_ashrrev_i16 v36, 8, v36
	v_pk_mul_f16 v5, v8, v7
	v_mul_u32_u24_e32 v75, 34, v48
	s_add_nc_u64 s[0:1], s[2:3], s[0:1]
	s_wait_dscnt 0xe
	v_bfe_i32 v73, v38, 0, 8
	v_ashrrev_i16 v38, 8, v38
	v_pk_mul_f16 v6, v10, v9
	v_mad_u32_u24 v48, v48, 34, v0
	s_wait_dscnt 0xc
	v_bfe_i32 v77, v40, 0, 8
	v_ashrrev_i16 v40, 8, v40
	v_pk_mul_f16 v7, v12, v11
	v_mul_u32_u24_e32 v76, 34, v49
	s_wait_dscnt 0xa
	v_bfe_i32 v78, v41, 0, 8
	v_ashrrev_i16 v41, 8, v41
	v_pk_mul_f16 v8, v14, v13
	v_pk_mul_f16 v9, v16, v15
	;; [unrolled: 1-line block ×11, first 2 shown]
	s_clause 0xf
	global_store_b32 v1, v3, s[0:1]
	global_store_b32 v1, v4, s[0:1] offset:128
	global_store_b32 v1, v5, s[0:1] offset:256
	global_store_b32 v1, v6, s[0:1] offset:384
	global_store_b32 v1, v7, s[0:1] offset:512
	global_store_b32 v1, v8, s[0:1] offset:640
	global_store_b32 v1, v9, s[0:1] offset:768
	global_store_b32 v1, v10, s[0:1] offset:896
	global_store_b32 v1, v11, s[0:1] offset:1024
	global_store_b32 v1, v12, s[0:1] offset:1152
	global_store_b32 v1, v13, s[0:1] offset:1280
	global_store_b32 v1, v14, s[0:1] offset:1408
	global_store_b32 v1, v15, s[0:1] offset:1536
	global_store_b32 v1, v16, s[0:1] offset:1664
	global_store_b32 v1, v17, s[0:1] offset:1792
	global_store_b32 v1, v18, s[0:1] offset:1920
	v_mad_u32_u24 v49, v49, 34, v0
	s_wait_dscnt 0x8
	v_bfe_i32 v79, v42, 0, 8
	v_ashrrev_i16 v42, 8, v42
	s_wait_dscnt 0x4
	v_bfe_i32 v81, v44, 0, 8
	v_ashrrev_i16 v44, 8, v44
	ds_load_u16 v3, v74
	ds_load_u16 v4, v47 offset:2
	ds_load_u16 v5, v75
	ds_load_u16 v6, v48 offset:2
	;; [unrolled: 2-line block ×3, first 2 shown]
	v_bfe_i32 v80, v43, 0, 8
	v_ashrrev_i16 v43, 8, v43
	s_wait_dscnt 0x8
	v_bfe_i32 v82, v45, 0, 8
	v_ashrrev_i16 v45, 8, v45
	v_cvt_f16_i16_e32 v36, v36
	v_cvt_f16_i16_e32 v72, v72
	s_wait_dscnt 0x6
	v_ashrrev_i16 v9, 8, v46
	v_bfe_i32 v10, v46, 0, 8
	v_cvt_f16_i16_e32 v38, v38
	v_cvt_f16_i16_e32 v73, v73
	;; [unrolled: 1-line block ×10, first 2 shown]
	v_mul_u32_u24_e32 v35, 0x10001, v35
	v_cvt_f16_i16_e32 v43, v43
	v_cvt_f16_i16_e32 v80, v80
	;; [unrolled: 1-line block ×4, first 2 shown]
	v_pack_b32_f16 v36, v72, v36
	v_cvt_f16_i16_e32 v9, v9
	v_cvt_f16_i16_e32 v10, v10
	v_mul_u32_u24_e32 v37, 0x10001, v37
	v_pack_b32_f16 v38, v73, v38
	v_mul_u32_u24_e32 v39, 0x10001, v39
	v_pack_b32_f16 v40, v77, v40
	;; [unrolled: 2-line block ×4, first 2 shown]
	v_pack_b32_f16 v44, v81, v44
	v_mul_u32_u24_e32 v11, 0x10001, v53
	v_mul_u32_u24_e32 v52, 0x10001, v52
	v_pack_b32_f16 v43, v80, v43
	v_pk_mul_f16 v19, v36, v35
	v_pack_b32_f16 v12, v82, v45
	v_mul_u32_u24_e32 v13, 0x10001, v54
	v_pack_b32_f16 v9, v10, v9
	v_mul_u32_u24_e32 v10, 0x10001, v55
	v_pk_mul_f16 v20, v38, v37
	v_pk_mul_f16 v21, v40, v39
	;; [unrolled: 1-line block ×7, first 2 shown]
	s_clause 0x7
	global_store_b32 v1, v19, s[0:1] offset:2048
	global_store_b32 v1, v20, s[0:1] offset:2176
	;; [unrolled: 1-line block ×8, first 2 shown]
	v_pk_mul_f16 v9, v9, v10
	s_wait_dscnt 0x4
	v_ashrrev_i16 v10, 8, v4
	v_bfe_i32 v4, v4, 0, 8
	v_add_nc_u32_e32 v11, 0x700, v2
	s_wait_dscnt 0x2
	v_ashrrev_i16 v12, 8, v6
	v_bfe_i32 v6, v6, 0, 8
	v_cvt_f16_i16_e32 v10, v10
	v_cvt_f16_i16_e32 v4, v4
	v_lshrrev_b32_e32 v11, 5, v11
	v_cvt_f16_i16_e32 v12, v12
	v_cvt_f16_i16_e32 v6, v6
	v_add_nc_u32_e32 v13, 0x740, v2
	v_pack_b32_f16 v4, v4, v10
	v_mad_u32_u24 v10, v11, 34, v0
	v_mul_u32_u24_e32 v11, 34, v11
	v_pack_b32_f16 v6, v6, v12
	v_lshrrev_b32_e32 v12, 5, v13
	v_add_nc_u32_e32 v13, 0x780, v2
	v_add_nc_u32_e32 v2, 0x7c0, v2
	ds_load_u16 v10, v10 offset:2
	v_mul_u32_u24_e32 v3, 0x10001, v3
	v_mad_u32_u24 v15, v12, 34, v0
	v_lshrrev_b32_e32 v13, 5, v13
	v_lshrrev_b32_e32 v2, 5, v2
	v_mul_u32_u24_e32 v12, 34, v12
	s_wait_dscnt 0x1
	v_ashrrev_i16 v14, 8, v8
	ds_load_u16 v15, v15 offset:2
	v_mul_u32_u24_e32 v16, 34, v13
	v_mad_u32_u24 v13, v13, 34, v0
	v_mul_u32_u24_e32 v17, 34, v2
	v_mad_u32_u24 v0, v2, 34, v0
	ds_load_u16 v2, v11
	ds_load_u16 v11, v12
	;; [unrolled: 1-line block ×3, first 2 shown]
	ds_load_u16 v13, v13 offset:2
	ds_load_u16 v16, v17
	ds_load_u16 v0, v0 offset:2
	v_bfe_i32 v8, v8, 0, 8
	v_mul_u32_u24_e32 v5, 0x10001, v5
	v_cvt_f16_i16_e32 v14, v14
	v_pk_mul_f16 v3, v4, v3
	v_mul_u32_u24_e32 v7, 0x10001, v7
	v_cvt_f16_i16_e32 v8, v8
	v_pk_mul_f16 v5, v6, v5
	s_wait_dscnt 0x7
	v_ashrrev_i16 v17, 8, v10
	v_bfe_i32 v10, v10, 0, 8
	v_pack_b32_f16 v6, v8, v14
	s_delay_alu instid0(VALU_DEP_3) | instskip(NEXT) | instid1(VALU_DEP_3)
	v_cvt_f16_i16_e32 v4, v17
	v_cvt_f16_i16_e32 v10, v10
	s_wait_dscnt 0x6
	v_ashrrev_i16 v8, 8, v15
	s_wait_dscnt 0x5
	v_mul_u32_u24_e32 v2, 0x10001, v2
	s_wait_dscnt 0x3
	v_mul_u32_u24_e32 v12, 0x10001, v12
	s_wait_dscnt 0x2
	v_ashrrev_i16 v14, 8, v13
	v_pack_b32_f16 v4, v10, v4
	v_bfe_i32 v10, v15, 0, 8
	v_bfe_i32 v13, v13, 0, 8
	s_wait_dscnt 0x0
	v_ashrrev_i16 v15, 8, v0
	v_bfe_i32 v0, v0, 0, 8
	v_cvt_f16_i16_e32 v8, v8
	v_cvt_f16_i16_e32 v10, v10
	;; [unrolled: 1-line block ×6, first 2 shown]
	v_pack_b32_f16 v8, v10, v8
	v_mul_u32_u24_e32 v10, 0x10001, v11
	v_pack_b32_f16 v11, v13, v14
	v_mul_u32_u24_e32 v13, 0x10001, v16
	v_pack_b32_f16 v0, v0, v15
	v_pk_mul_f16 v6, v6, v7
	v_pk_mul_f16 v2, v4, v2
	v_pk_mul_f16 v4, v8, v10
	v_pk_mul_f16 v7, v11, v12
	v_pk_mul_f16 v0, v0, v13
	s_clause 0x7
	global_store_b32 v1, v9, s[0:1] offset:3072
	global_store_b32 v1, v3, s[0:1] offset:3200
	;; [unrolled: 1-line block ×8, first 2 shown]
	s_endpgm
	.section	.rodata,"a",@progbits
	.p2align	6, 0x0
	.amdhsa_kernel _ZL25dequantize_block_q8_0_f16ILb0EEvPKvP6__halfl
		.amdhsa_group_segment_fixed_size 2176
		.amdhsa_private_segment_fixed_size 0
		.amdhsa_kernarg_size 24
		.amdhsa_user_sgpr_count 2
		.amdhsa_user_sgpr_dispatch_ptr 0
		.amdhsa_user_sgpr_queue_ptr 0
		.amdhsa_user_sgpr_kernarg_segment_ptr 1
		.amdhsa_user_sgpr_dispatch_id 0
		.amdhsa_user_sgpr_private_segment_size 0
		.amdhsa_wavefront_size32 1
		.amdhsa_uses_dynamic_stack 0
		.amdhsa_enable_private_segment 0
		.amdhsa_system_sgpr_workgroup_id_x 1
		.amdhsa_system_sgpr_workgroup_id_y 0
		.amdhsa_system_sgpr_workgroup_id_z 0
		.amdhsa_system_sgpr_workgroup_info 0
		.amdhsa_system_vgpr_workitem_id 0
		.amdhsa_next_free_vgpr 83
		.amdhsa_next_free_sgpr 8
		.amdhsa_reserve_vcc 0
		.amdhsa_float_round_mode_32 0
		.amdhsa_float_round_mode_16_64 0
		.amdhsa_float_denorm_mode_32 3
		.amdhsa_float_denorm_mode_16_64 3
		.amdhsa_fp16_overflow 0
		.amdhsa_workgroup_processor_mode 1
		.amdhsa_memory_ordered 1
		.amdhsa_forward_progress 1
		.amdhsa_inst_pref_size 30
		.amdhsa_round_robin_scheduling 0
		.amdhsa_exception_fp_ieee_invalid_op 0
		.amdhsa_exception_fp_denorm_src 0
		.amdhsa_exception_fp_ieee_div_zero 0
		.amdhsa_exception_fp_ieee_overflow 0
		.amdhsa_exception_fp_ieee_underflow 0
		.amdhsa_exception_fp_ieee_inexact 0
		.amdhsa_exception_int_div_zero 0
	.end_amdhsa_kernel
	.section	.text._ZL25dequantize_block_q8_0_f16ILb0EEvPKvP6__halfl,"axG",@progbits,_ZL25dequantize_block_q8_0_f16ILb0EEvPKvP6__halfl,comdat
.Lfunc_end0:
	.size	_ZL25dequantize_block_q8_0_f16ILb0EEvPKvP6__halfl, .Lfunc_end0-_ZL25dequantize_block_q8_0_f16ILb0EEvPKvP6__halfl
                                        ; -- End function
	.set _ZL25dequantize_block_q8_0_f16ILb0EEvPKvP6__halfl.num_vgpr, 83
	.set _ZL25dequantize_block_q8_0_f16ILb0EEvPKvP6__halfl.num_agpr, 0
	.set _ZL25dequantize_block_q8_0_f16ILb0EEvPKvP6__halfl.numbered_sgpr, 8
	.set _ZL25dequantize_block_q8_0_f16ILb0EEvPKvP6__halfl.num_named_barrier, 0
	.set _ZL25dequantize_block_q8_0_f16ILb0EEvPKvP6__halfl.private_seg_size, 0
	.set _ZL25dequantize_block_q8_0_f16ILb0EEvPKvP6__halfl.uses_vcc, 0
	.set _ZL25dequantize_block_q8_0_f16ILb0EEvPKvP6__halfl.uses_flat_scratch, 0
	.set _ZL25dequantize_block_q8_0_f16ILb0EEvPKvP6__halfl.has_dyn_sized_stack, 0
	.set _ZL25dequantize_block_q8_0_f16ILb0EEvPKvP6__halfl.has_recursion, 0
	.set _ZL25dequantize_block_q8_0_f16ILb0EEvPKvP6__halfl.has_indirect_call, 0
	.section	.AMDGPU.csdata,"",@progbits
; Kernel info:
; codeLenInByte = 3748
; TotalNumSgprs: 8
; NumVgprs: 83
; ScratchSize: 0
; MemoryBound: 0
; FloatMode: 240
; IeeeMode: 1
; LDSByteSize: 2176 bytes/workgroup (compile time only)
; SGPRBlocks: 0
; VGPRBlocks: 10
; NumSGPRsForWavesPerEU: 8
; NumVGPRsForWavesPerEU: 83
; Occupancy: 16
; WaveLimiterHint : 1
; COMPUTE_PGM_RSRC2:SCRATCH_EN: 0
; COMPUTE_PGM_RSRC2:USER_SGPR: 2
; COMPUTE_PGM_RSRC2:TRAP_HANDLER: 0
; COMPUTE_PGM_RSRC2:TGID_X_EN: 1
; COMPUTE_PGM_RSRC2:TGID_Y_EN: 0
; COMPUTE_PGM_RSRC2:TGID_Z_EN: 0
; COMPUTE_PGM_RSRC2:TIDIG_COMP_CNT: 0
	.section	.text._ZL25dequantize_block_q8_0_f16ILb1EEvPKvP6__halfl,"axG",@progbits,_ZL25dequantize_block_q8_0_f16ILb1EEvPKvP6__halfl,comdat
	.globl	_ZL25dequantize_block_q8_0_f16ILb1EEvPKvP6__halfl ; -- Begin function _ZL25dequantize_block_q8_0_f16ILb1EEvPKvP6__halfl
	.p2align	8
	.type	_ZL25dequantize_block_q8_0_f16ILb1EEvPKvP6__halfl,@function
_ZL25dequantize_block_q8_0_f16ILb1EEvPKvP6__halfl: ; @_ZL25dequantize_block_q8_0_f16ILb1EEvPKvP6__halfl
; %bb.0:
	s_load_b64 s[2:3], s[0:1], 0x10
	s_lshl_b32 s4, ttmp9, 11
	s_mov_b32 s5, 0
	v_lshlrev_b32_e32 v4, 2, v0
	s_mul_u64 s[6:7], s[4:5], 34
	s_mov_b32 s12, exec_lo
	s_lshr_b64 s[6:7], s[6:7], 5
	s_delay_alu instid0(VALU_DEP_1) | instid1(SALU_CYCLE_1)
	v_add_co_u32 v1, s8, s6, v4
	s_delay_alu instid0(VALU_DEP_1)
	v_add_co_ci_u32_e64 v2, null, s7, 0, s8
	s_wait_kmcnt 0x0
	s_mul_u64 s[8:9], s[2:3], 34
	s_wait_alu 0xfffe
	s_lshr_b64 s[8:9], s[8:9], 5
	s_wait_alu 0xfffe
	v_cmpx_gt_u64_e64 s[8:9], v[1:2]
	s_cbranch_execz .LBB1_18
; %bb.1:
	s_load_b64 s[10:11], s[0:1], 0x0
	s_mul_i32 s14, ttmp9, 0x220
	s_mov_b32 s15, s5
	v_add_nc_u32_e32 v1, 0x80, v4
	s_lshl_b64 s[14:15], s[14:15], 2
	s_delay_alu instid0(VALU_DEP_1) | instskip(NEXT) | instid1(VALU_DEP_1)
	v_add_co_u32 v1, s13, s6, v1
	v_add_co_ci_u32_e64 v2, null, s7, 0, s13
	s_delay_alu instid0(VALU_DEP_1)
	v_cmp_gt_u64_e32 vcc_lo, s[8:9], v[1:2]
	s_wait_kmcnt 0x0
	s_add_nc_u64 s[10:11], s[10:11], s[14:15]
	global_load_b32 v3, v4, s[10:11]
	s_wait_loadcnt 0x0
	ds_store_b32 v4, v3
	s_and_b32 exec_lo, exec_lo, vcc_lo
	s_cbranch_execz .LBB1_18
; %bb.2:
	v_add_co_u32 v1, s10, s10, v4
	s_wait_alu 0xf1ff
	v_add_co_ci_u32_e64 v2, null, s11, 0, s10
	v_lshl_add_u32 v5, v0, 2, 0x100
	global_load_b32 v3, v[1:2], off offset:128
	v_add_co_u32 v5, s10, s6, v5
	s_wait_alu 0xf1ff
	v_add_co_ci_u32_e64 v6, null, s7, 0, s10
	s_delay_alu instid0(VALU_DEP_1)
	v_cmp_gt_u64_e32 vcc_lo, s[8:9], v[5:6]
	s_wait_loadcnt 0x0
	ds_store_b32 v4, v3 offset:128
	s_and_b32 exec_lo, exec_lo, vcc_lo
	s_cbranch_execz .LBB1_18
; %bb.3:
	global_load_b32 v3, v[1:2], off offset:256
	v_lshl_add_u32 v5, v0, 2, 0x180
	s_delay_alu instid0(VALU_DEP_1) | instskip(SKIP_2) | instid1(VALU_DEP_1)
	v_add_co_u32 v5, s10, s6, v5
	s_wait_alu 0xf1ff
	v_add_co_ci_u32_e64 v6, null, s7, 0, s10
	v_cmp_gt_u64_e32 vcc_lo, s[8:9], v[5:6]
	s_wait_loadcnt 0x0
	ds_store_b32 v4, v3 offset:256
	s_and_b32 exec_lo, exec_lo, vcc_lo
	s_cbranch_execz .LBB1_18
; %bb.4:
	global_load_b32 v3, v[1:2], off offset:384
	v_lshl_add_u32 v5, v0, 2, 0x200
	s_delay_alu instid0(VALU_DEP_1) | instskip(SKIP_2) | instid1(VALU_DEP_1)
	v_add_co_u32 v5, s10, s6, v5
	s_wait_alu 0xf1ff
	v_add_co_ci_u32_e64 v6, null, s7, 0, s10
	;; [unrolled: 12-line block ×14, first 2 shown]
	v_cmp_gt_u64_e32 vcc_lo, s[8:9], v[5:6]
	s_wait_loadcnt 0x0
	ds_store_b32 v4, v3 offset:1920
	s_and_b32 exec_lo, exec_lo, vcc_lo
	s_cbranch_execz .LBB1_18
; %bb.17:
	global_load_b32 v1, v[1:2], off offset:2048
	s_wait_loadcnt 0x0
	ds_store_b32 v4, v1 offset:2048
.LBB1_18:
	s_or_b32 exec_lo, exec_lo, s12
	v_lshlrev_b32_e32 v2, 1, v0
	v_mov_b32_e32 v6, 0
	s_wait_dscnt 0x0
	s_barrier_signal -1
	s_barrier_wait -1
	v_or_b32_e32 v5, s4, v2
	global_inv scope:SCOPE_SE
	s_mov_b32 s6, exec_lo
	v_cmpx_gt_i64_e64 s[2:3], v[5:6]
	s_cbranch_execz .LBB1_51
; %bb.19:
	v_and_b32_e32 v1, 15, v0
	v_lshrrev_b32_e32 v0, 4, v0
	s_load_b64 s[0:1], s[0:1], 0x8
	s_or_b32 s6, s4, 64
	s_delay_alu instid0(VALU_DEP_2) | instskip(NEXT) | instid1(VALU_DEP_1)
	v_lshlrev_b32_e32 v3, 1, v1
	v_mad_u32_u24 v1, v0, 34, v3
	v_mul_u32_u24_e32 v0, 34, v0
	ds_load_u16 v1, v1 offset:2
	ds_load_u16 v0, v0
	s_wait_dscnt 0x1
	v_ashrrev_i16 v5, 8, v1
	v_bfe_i32 v1, v1, 0, 8
	s_wait_dscnt 0x0
	v_mul_u32_u24_e32 v6, 0x10001, v0
	s_wait_alu 0xfffe
	v_add_co_u32 v0, s6, s6, v2
	v_cvt_f16_i16_e32 v5, v5
	v_cvt_f16_i16_e32 v1, v1
	s_delay_alu instid0(VALU_DEP_1)
	v_pack_b32_f16 v5, v1, v5
	s_wait_alu 0xf1ff
	v_add_co_ci_u32_e64 v1, null, 0, 0, s6
	s_lshl_b64 s[6:7], s[4:5], 1
	v_pk_mul_f16 v5, v5, v6
	v_cmp_gt_u64_e32 vcc_lo, s[2:3], v[0:1]
	s_wait_kmcnt 0x0
	s_wait_alu 0xfffe
	s_add_nc_u64 s[0:1], s[0:1], s[6:7]
	global_store_b32 v4, v5, s[0:1]
	s_and_b32 exec_lo, exec_lo, vcc_lo
	s_cbranch_execz .LBB1_51
; %bb.20:
	v_add_nc_u32_e32 v0, 64, v2
	s_or_b32 s5, s4, 0x80
	s_delay_alu instid0(VALU_DEP_1) | instskip(NEXT) | instid1(VALU_DEP_1)
	v_lshrrev_b32_e32 v0, 5, v0
	v_mad_u32_u24 v1, v0, 34, v3
	v_mul_u32_u24_e32 v0, 34, v0
	ds_load_u16 v1, v1 offset:2
	ds_load_u16 v0, v0
	s_wait_dscnt 0x1
	v_ashrrev_i16 v5, 8, v1
	v_bfe_i32 v1, v1, 0, 8
	s_wait_dscnt 0x0
	v_mul_u32_u24_e32 v8, 0x10001, v0
	v_add_co_u32 v0, s0, s0, v4
	v_cvt_f16_i16_e32 v7, v5
	v_cvt_f16_i16_e32 v1, v1
	s_wait_alu 0xfffe
	v_add_co_u32 v5, s5, s5, v2
	s_wait_alu 0xf1ff
	v_add_co_ci_u32_e64 v6, null, 0, 0, s5
	v_pack_b32_f16 v7, v1, v7
	v_add_co_ci_u32_e64 v1, null, s1, 0, s0
	s_delay_alu instid0(VALU_DEP_3) | instskip(NEXT) | instid1(VALU_DEP_3)
	v_cmp_gt_u64_e32 vcc_lo, s[2:3], v[5:6]
	v_pk_mul_f16 v4, v7, v8
	global_store_b32 v[0:1], v4, off offset:128
	s_and_b32 exec_lo, exec_lo, vcc_lo
	s_cbranch_execz .LBB1_51
; %bb.21:
	v_add_nc_u32_e32 v4, 0x80, v2
	s_or_b32 s0, s4, 0xc0
	s_delay_alu instid0(VALU_DEP_1) | instskip(NEXT) | instid1(VALU_DEP_1)
	v_lshrrev_b32_e32 v4, 5, v4
	v_mad_u32_u24 v5, v4, 34, v3
	v_mul_u32_u24_e32 v4, 34, v4
	ds_load_u16 v5, v5 offset:2
	ds_load_u16 v4, v4
	s_wait_dscnt 0x1
	v_ashrrev_i16 v6, 8, v5
	v_bfe_i32 v5, v5, 0, 8
	s_wait_dscnt 0x0
	v_mul_u32_u24_e32 v7, 0x10001, v4
	s_wait_alu 0xfffe
	v_add_co_u32 v4, s0, s0, v2
	v_cvt_f16_i16_e32 v6, v6
	v_cvt_f16_i16_e32 v5, v5
	s_delay_alu instid0(VALU_DEP_1) | instskip(SKIP_2) | instid1(VALU_DEP_2)
	v_pack_b32_f16 v6, v5, v6
	s_wait_alu 0xf1ff
	v_add_co_ci_u32_e64 v5, null, 0, 0, s0
	v_pk_mul_f16 v6, v6, v7
	s_delay_alu instid0(VALU_DEP_2)
	v_cmp_gt_u64_e32 vcc_lo, s[2:3], v[4:5]
	global_store_b32 v[0:1], v6, off offset:256
	s_and_b32 exec_lo, exec_lo, vcc_lo
	s_cbranch_execz .LBB1_51
; %bb.22:
	v_add_nc_u32_e32 v4, 0xc0, v2
	s_or_b32 s0, s4, 0x100
	s_delay_alu instid0(VALU_DEP_1) | instskip(NEXT) | instid1(VALU_DEP_1)
	v_lshrrev_b32_e32 v4, 5, v4
	v_mad_u32_u24 v5, v4, 34, v3
	v_mul_u32_u24_e32 v4, 34, v4
	ds_load_u16 v5, v5 offset:2
	ds_load_u16 v4, v4
	s_wait_dscnt 0x1
	v_ashrrev_i16 v6, 8, v5
	v_bfe_i32 v5, v5, 0, 8
	s_wait_dscnt 0x0
	v_mul_u32_u24_e32 v7, 0x10001, v4
	s_wait_alu 0xfffe
	v_add_co_u32 v4, s0, s0, v2
	v_cvt_f16_i16_e32 v6, v6
	v_cvt_f16_i16_e32 v5, v5
	s_delay_alu instid0(VALU_DEP_1) | instskip(SKIP_2) | instid1(VALU_DEP_2)
	v_pack_b32_f16 v6, v5, v6
	s_wait_alu 0xf1ff
	v_add_co_ci_u32_e64 v5, null, 0, 0, s0
	v_pk_mul_f16 v6, v6, v7
	s_delay_alu instid0(VALU_DEP_2)
	v_cmp_gt_u64_e32 vcc_lo, s[2:3], v[4:5]
	;; [unrolled: 28-line block ×29, first 2 shown]
	global_store_b32 v[0:1], v6, off offset:3840
	s_and_b32 exec_lo, exec_lo, vcc_lo
	s_cbranch_execz .LBB1_51
; %bb.50:
	v_add_nc_u32_e32 v2, 0x7c0, v2
	s_delay_alu instid0(VALU_DEP_1) | instskip(NEXT) | instid1(VALU_DEP_1)
	v_lshrrev_b32_e32 v2, 5, v2
	v_mad_u32_u24 v3, v2, 34, v3
	v_mul_u32_u24_e32 v2, 34, v2
	ds_load_u16 v3, v3 offset:2
	ds_load_u16 v2, v2
	s_wait_dscnt 0x1
	v_ashrrev_i16 v4, 8, v3
	v_bfe_i32 v3, v3, 0, 8
	s_wait_dscnt 0x0
	v_mul_u32_u24_e32 v2, 0x10001, v2
	s_delay_alu instid0(VALU_DEP_3) | instskip(NEXT) | instid1(VALU_DEP_3)
	v_cvt_f16_i16_e32 v4, v4
	v_cvt_f16_i16_e32 v3, v3
	s_delay_alu instid0(VALU_DEP_1) | instskip(NEXT) | instid1(VALU_DEP_1)
	v_pack_b32_f16 v3, v3, v4
	v_pk_mul_f16 v2, v3, v2
	global_store_b32 v[0:1], v2, off offset:3968
.LBB1_51:
	s_endpgm
	.section	.rodata,"a",@progbits
	.p2align	6, 0x0
	.amdhsa_kernel _ZL25dequantize_block_q8_0_f16ILb1EEvPKvP6__halfl
		.amdhsa_group_segment_fixed_size 2176
		.amdhsa_private_segment_fixed_size 0
		.amdhsa_kernarg_size 24
		.amdhsa_user_sgpr_count 2
		.amdhsa_user_sgpr_dispatch_ptr 0
		.amdhsa_user_sgpr_queue_ptr 0
		.amdhsa_user_sgpr_kernarg_segment_ptr 1
		.amdhsa_user_sgpr_dispatch_id 0
		.amdhsa_user_sgpr_private_segment_size 0
		.amdhsa_wavefront_size32 1
		.amdhsa_uses_dynamic_stack 0
		.amdhsa_enable_private_segment 0
		.amdhsa_system_sgpr_workgroup_id_x 1
		.amdhsa_system_sgpr_workgroup_id_y 0
		.amdhsa_system_sgpr_workgroup_id_z 0
		.amdhsa_system_sgpr_workgroup_info 0
		.amdhsa_system_vgpr_workitem_id 0
		.amdhsa_next_free_vgpr 9
		.amdhsa_next_free_sgpr 16
		.amdhsa_reserve_vcc 1
		.amdhsa_float_round_mode_32 0
		.amdhsa_float_round_mode_16_64 0
		.amdhsa_float_denorm_mode_32 3
		.amdhsa_float_denorm_mode_16_64 3
		.amdhsa_fp16_overflow 0
		.amdhsa_workgroup_processor_mode 1
		.amdhsa_memory_ordered 1
		.amdhsa_forward_progress 1
		.amdhsa_inst_pref_size 52
		.amdhsa_round_robin_scheduling 0
		.amdhsa_exception_fp_ieee_invalid_op 0
		.amdhsa_exception_fp_denorm_src 0
		.amdhsa_exception_fp_ieee_div_zero 0
		.amdhsa_exception_fp_ieee_overflow 0
		.amdhsa_exception_fp_ieee_underflow 0
		.amdhsa_exception_fp_ieee_inexact 0
		.amdhsa_exception_int_div_zero 0
	.end_amdhsa_kernel
	.section	.text._ZL25dequantize_block_q8_0_f16ILb1EEvPKvP6__halfl,"axG",@progbits,_ZL25dequantize_block_q8_0_f16ILb1EEvPKvP6__halfl,comdat
.Lfunc_end1:
	.size	_ZL25dequantize_block_q8_0_f16ILb1EEvPKvP6__halfl, .Lfunc_end1-_ZL25dequantize_block_q8_0_f16ILb1EEvPKvP6__halfl
                                        ; -- End function
	.set _ZL25dequantize_block_q8_0_f16ILb1EEvPKvP6__halfl.num_vgpr, 9
	.set _ZL25dequantize_block_q8_0_f16ILb1EEvPKvP6__halfl.num_agpr, 0
	.set _ZL25dequantize_block_q8_0_f16ILb1EEvPKvP6__halfl.numbered_sgpr, 16
	.set _ZL25dequantize_block_q8_0_f16ILb1EEvPKvP6__halfl.num_named_barrier, 0
	.set _ZL25dequantize_block_q8_0_f16ILb1EEvPKvP6__halfl.private_seg_size, 0
	.set _ZL25dequantize_block_q8_0_f16ILb1EEvPKvP6__halfl.uses_vcc, 1
	.set _ZL25dequantize_block_q8_0_f16ILb1EEvPKvP6__halfl.uses_flat_scratch, 0
	.set _ZL25dequantize_block_q8_0_f16ILb1EEvPKvP6__halfl.has_dyn_sized_stack, 0
	.set _ZL25dequantize_block_q8_0_f16ILb1EEvPKvP6__halfl.has_recursion, 0
	.set _ZL25dequantize_block_q8_0_f16ILb1EEvPKvP6__halfl.has_indirect_call, 0
	.section	.AMDGPU.csdata,"",@progbits
; Kernel info:
; codeLenInByte = 6600
; TotalNumSgprs: 18
; NumVgprs: 9
; ScratchSize: 0
; MemoryBound: 0
; FloatMode: 240
; IeeeMode: 1
; LDSByteSize: 2176 bytes/workgroup (compile time only)
; SGPRBlocks: 0
; VGPRBlocks: 1
; NumSGPRsForWavesPerEU: 18
; NumVGPRsForWavesPerEU: 9
; Occupancy: 16
; WaveLimiterHint : 0
; COMPUTE_PGM_RSRC2:SCRATCH_EN: 0
; COMPUTE_PGM_RSRC2:USER_SGPR: 2
; COMPUTE_PGM_RSRC2:TRAP_HANDLER: 0
; COMPUTE_PGM_RSRC2:TGID_X_EN: 1
; COMPUTE_PGM_RSRC2:TGID_Y_EN: 0
; COMPUTE_PGM_RSRC2:TGID_Z_EN: 0
; COMPUTE_PGM_RSRC2:TIDIG_COMP_CNT: 0
	.section	.text._ZL21dequantize_block_q4_0I6__halfEvPKvPT_i,"axG",@progbits,_ZL21dequantize_block_q4_0I6__halfEvPKvPT_i,comdat
	.globl	_ZL21dequantize_block_q4_0I6__halfEvPKvPT_i ; -- Begin function _ZL21dequantize_block_q4_0I6__halfEvPKvPT_i
	.p2align	8
	.type	_ZL21dequantize_block_q4_0I6__halfEvPKvPT_i,@function
_ZL21dequantize_block_q4_0I6__halfEvPKvPT_i: ; @_ZL21dequantize_block_q4_0I6__halfEvPKvPT_i
; %bb.0:
	s_load_b32 s4, s[0:1], 0x10
	s_mov_b32 s2, ttmp9
	s_mov_b32 s3, 0
	s_delay_alu instid0(SALU_CYCLE_1) | instskip(NEXT) | instid1(SALU_CYCLE_1)
	s_lshl_b64 s[6:7], s[2:3], 3
	v_dual_mov_b32 v2, s7 :: v_dual_and_b32 v3, 7, v0
	s_delay_alu instid0(VALU_DEP_1)
	v_or_b32_e32 v1, s6, v3
	s_wait_kmcnt 0x0
	s_ashr_i32 s5, s4, 31
	s_delay_alu instid0(VALU_DEP_1) | instid1(SALU_CYCLE_1)
	v_cmp_gt_i64_e32 vcc_lo, s[4:5], v[1:2]
	s_and_saveexec_b32 s4, vcc_lo
	s_cbranch_execz .LBB2_2
; %bb.1:
	s_load_b128 s[4:7], s[0:1], 0x0
	v_lshrrev_b32_e32 v0, 1, v0
	s_lshl_b64 s[0:1], s[2:3], 9
	s_wait_kmcnt 0x0
	v_mad_co_u64_u32 v[4:5], null, v1, 18, s[4:5]
	s_add_nc_u64 s[0:1], s[6:7], s[0:1]
	v_mad_u32_u24 v5, v2, 18, v5
	v_and_b32_e32 v2, 0x1fc, v0
	global_load_u16 v6, v[4:5], off
	v_add_co_u32 v0, vcc_lo, v4, v2
	s_delay_alu instid0(VALU_DEP_1) | instskip(SKIP_4) | instid1(VALU_DEP_1)
	v_add_co_ci_u32_e64 v1, null, 0, v5, vcc_lo
	global_load_b32 v0, v[0:1], off offset:2
	v_lshlrev_b32_e32 v4, 1, v2
	s_wait_loadcnt 0x1
	v_cvt_f32_f16_e32 v2, v6
	v_dual_mul_f32 v8, 0xc1000000, v2 :: v_dual_lshlrev_b32 v1, 6, v3
	s_delay_alu instid0(VALU_DEP_1)
	v_add_co_u32 v5, s0, s0, v1
	s_wait_loadcnt 0x0
	v_lshrrev_b32_e32 v1, 8, v0
	v_lshrrev_b16 v9, 4, v0
	v_and_b32_e32 v3, 15, v0
	v_bfe_u32 v11, v0, 16, 4
	v_lshrrev_b32_e32 v2, 24, v0
	v_bfe_u32 v12, v0, 20, 4
	v_and_b32_e32 v9, 15, v9
	v_lshrrev_b16 v1, 4, v1
	v_bfe_u32 v10, v0, 8, 4
	v_bfe_u32 v0, v0, 24, 4
	v_cvt_f32_ubyte0_e32 v3, v3
	v_cvt_f32_ubyte0_e32 v11, v11
	;; [unrolled: 1-line block ×3, first 2 shown]
	v_lshrrev_b16 v2, 4, v2
	v_cvt_f32_ubyte0_e32 v9, v9
	v_and_b32_e32 v14, 15, v1
	s_wait_alu 0xf1ff
	v_add_co_ci_u32_e64 v7, null, s1, 0, s0
	v_cvt_f32_ubyte0_e32 v10, v10
	v_cvt_f32_ubyte0_e32 v13, v0
	v_fma_mixlo_f16 v0, v6, v3, v8 op_sel_hi:[1,0,0]
	v_fma_mixlo_f16 v1, v6, v11, v8 op_sel_hi:[1,0,0]
	;; [unrolled: 1-line block ×3, first 2 shown]
	v_cvt_f32_ubyte0_e32 v11, v2
	v_fma_mixlo_f16 v2, v6, v9, v8 op_sel_hi:[1,0,0]
	v_cvt_f32_ubyte0_e32 v9, v14
	v_add_co_u32 v4, vcc_lo, v5, v4
	s_wait_alu 0xfffd
	v_add_co_ci_u32_e64 v5, null, 0, v7, vcc_lo
	v_fma_mixhi_f16 v1, v6, v13, v8 op_sel_hi:[1,0,0]
	v_fma_mixhi_f16 v0, v6, v10, v8 op_sel_hi:[1,0,0]
	;; [unrolled: 1-line block ×4, first 2 shown]
	s_clause 0x1
	global_store_b64 v[4:5], v[0:1], off
	global_store_b64 v[4:5], v[2:3], off offset:32
.LBB2_2:
	s_endpgm
	.section	.rodata,"a",@progbits
	.p2align	6, 0x0
	.amdhsa_kernel _ZL21dequantize_block_q4_0I6__halfEvPKvPT_i
		.amdhsa_group_segment_fixed_size 0
		.amdhsa_private_segment_fixed_size 0
		.amdhsa_kernarg_size 20
		.amdhsa_user_sgpr_count 2
		.amdhsa_user_sgpr_dispatch_ptr 0
		.amdhsa_user_sgpr_queue_ptr 0
		.amdhsa_user_sgpr_kernarg_segment_ptr 1
		.amdhsa_user_sgpr_dispatch_id 0
		.amdhsa_user_sgpr_private_segment_size 0
		.amdhsa_wavefront_size32 1
		.amdhsa_uses_dynamic_stack 0
		.amdhsa_enable_private_segment 0
		.amdhsa_system_sgpr_workgroup_id_x 1
		.amdhsa_system_sgpr_workgroup_id_y 0
		.amdhsa_system_sgpr_workgroup_id_z 0
		.amdhsa_system_sgpr_workgroup_info 0
		.amdhsa_system_vgpr_workitem_id 0
		.amdhsa_next_free_vgpr 15
		.amdhsa_next_free_sgpr 8
		.amdhsa_reserve_vcc 1
		.amdhsa_float_round_mode_32 0
		.amdhsa_float_round_mode_16_64 0
		.amdhsa_float_denorm_mode_32 3
		.amdhsa_float_denorm_mode_16_64 3
		.amdhsa_fp16_overflow 0
		.amdhsa_workgroup_processor_mode 1
		.amdhsa_memory_ordered 1
		.amdhsa_forward_progress 1
		.amdhsa_inst_pref_size 4
		.amdhsa_round_robin_scheduling 0
		.amdhsa_exception_fp_ieee_invalid_op 0
		.amdhsa_exception_fp_denorm_src 0
		.amdhsa_exception_fp_ieee_div_zero 0
		.amdhsa_exception_fp_ieee_overflow 0
		.amdhsa_exception_fp_ieee_underflow 0
		.amdhsa_exception_fp_ieee_inexact 0
		.amdhsa_exception_int_div_zero 0
	.end_amdhsa_kernel
	.section	.text._ZL21dequantize_block_q4_0I6__halfEvPKvPT_i,"axG",@progbits,_ZL21dequantize_block_q4_0I6__halfEvPKvPT_i,comdat
.Lfunc_end2:
	.size	_ZL21dequantize_block_q4_0I6__halfEvPKvPT_i, .Lfunc_end2-_ZL21dequantize_block_q4_0I6__halfEvPKvPT_i
                                        ; -- End function
	.set _ZL21dequantize_block_q4_0I6__halfEvPKvPT_i.num_vgpr, 15
	.set _ZL21dequantize_block_q4_0I6__halfEvPKvPT_i.num_agpr, 0
	.set _ZL21dequantize_block_q4_0I6__halfEvPKvPT_i.numbered_sgpr, 8
	.set _ZL21dequantize_block_q4_0I6__halfEvPKvPT_i.num_named_barrier, 0
	.set _ZL21dequantize_block_q4_0I6__halfEvPKvPT_i.private_seg_size, 0
	.set _ZL21dequantize_block_q4_0I6__halfEvPKvPT_i.uses_vcc, 1
	.set _ZL21dequantize_block_q4_0I6__halfEvPKvPT_i.uses_flat_scratch, 0
	.set _ZL21dequantize_block_q4_0I6__halfEvPKvPT_i.has_dyn_sized_stack, 0
	.set _ZL21dequantize_block_q4_0I6__halfEvPKvPT_i.has_recursion, 0
	.set _ZL21dequantize_block_q4_0I6__halfEvPKvPT_i.has_indirect_call, 0
	.section	.AMDGPU.csdata,"",@progbits
; Kernel info:
; codeLenInByte = 432
; TotalNumSgprs: 10
; NumVgprs: 15
; ScratchSize: 0
; MemoryBound: 0
; FloatMode: 240
; IeeeMode: 1
; LDSByteSize: 0 bytes/workgroup (compile time only)
; SGPRBlocks: 0
; VGPRBlocks: 1
; NumSGPRsForWavesPerEU: 10
; NumVGPRsForWavesPerEU: 15
; Occupancy: 16
; WaveLimiterHint : 0
; COMPUTE_PGM_RSRC2:SCRATCH_EN: 0
; COMPUTE_PGM_RSRC2:USER_SGPR: 2
; COMPUTE_PGM_RSRC2:TRAP_HANDLER: 0
; COMPUTE_PGM_RSRC2:TGID_X_EN: 1
; COMPUTE_PGM_RSRC2:TGID_Y_EN: 0
; COMPUTE_PGM_RSRC2:TGID_Z_EN: 0
; COMPUTE_PGM_RSRC2:TIDIG_COMP_CNT: 0
	.section	.text._ZL21dequantize_block_q4_1I6__halfEvPKvPT_i,"axG",@progbits,_ZL21dequantize_block_q4_1I6__halfEvPKvPT_i,comdat
	.globl	_ZL21dequantize_block_q4_1I6__halfEvPKvPT_i ; -- Begin function _ZL21dequantize_block_q4_1I6__halfEvPKvPT_i
	.p2align	8
	.type	_ZL21dequantize_block_q4_1I6__halfEvPKvPT_i,@function
_ZL21dequantize_block_q4_1I6__halfEvPKvPT_i: ; @_ZL21dequantize_block_q4_1I6__halfEvPKvPT_i
; %bb.0:
	s_load_b32 s4, s[0:1], 0x10
	s_mov_b32 s2, ttmp9
	s_mov_b32 s3, 0
	s_delay_alu instid0(SALU_CYCLE_1) | instskip(NEXT) | instid1(SALU_CYCLE_1)
	s_lshl_b64 s[6:7], s[2:3], 3
	v_dual_mov_b32 v2, s7 :: v_dual_and_b32 v3, 7, v0
	s_delay_alu instid0(VALU_DEP_1)
	v_or_b32_e32 v1, s6, v3
	s_wait_kmcnt 0x0
	s_ashr_i32 s5, s4, 31
	s_delay_alu instid0(VALU_DEP_1) | instid1(SALU_CYCLE_1)
	v_cmp_gt_i64_e32 vcc_lo, s[4:5], v[1:2]
	s_and_saveexec_b32 s4, vcc_lo
	s_cbranch_execz .LBB3_2
; %bb.1:
	s_load_b128 s[4:7], s[0:1], 0x0
	v_lshrrev_b32_e32 v0, 1, v0
	s_lshl_b64 s[0:1], s[2:3], 9
	s_delay_alu instid0(VALU_DEP_1)
	v_and_b32_e32 v6, 0x1fc, v0
	s_wait_kmcnt 0x0
	v_mad_co_u64_u32 v[4:5], null, v1, 20, s[4:5]
	s_add_nc_u64 s[0:1], s[6:7], s[0:1]
	v_mad_u32_u24 v5, v2, 20, v5
	v_add_co_u32 v0, vcc_lo, v4, v6
	s_delay_alu instid0(VALU_DEP_1)
	v_add_co_ci_u32_e64 v1, null, 0, v5, vcc_lo
	s_clause 0x1
	global_load_b32 v0, v[0:1], off offset:4
	global_load_b32 v7, v[4:5], off
	v_lshlrev_b32_e32 v1, 6, v3
	v_lshlrev_b32_e32 v4, 1, v6
	s_delay_alu instid0(VALU_DEP_2) | instskip(SKIP_2) | instid1(VALU_DEP_2)
	v_add_co_u32 v5, s0, s0, v1
	s_wait_alu 0xf1ff
	v_add_co_ci_u32_e64 v6, null, s1, 0, s0
	v_add_co_u32 v4, vcc_lo, v5, v4
	s_wait_alu 0xfffd
	s_delay_alu instid0(VALU_DEP_2)
	v_add_co_ci_u32_e64 v5, null, 0, v6, vcc_lo
	s_wait_loadcnt 0x1
	v_lshrrev_b32_e32 v1, 8, v0
	v_lshrrev_b16 v8, 4, v0
	v_and_b32_e32 v3, 15, v0
	v_bfe_u32 v10, v0, 16, 4
	v_lshrrev_b32_e32 v2, 24, v0
	v_bfe_u32 v11, v0, 20, 4
	v_and_b32_e32 v8, 15, v8
	v_lshrrev_b16 v1, 4, v1
	v_bfe_u32 v9, v0, 8, 4
	v_bfe_u32 v0, v0, 24, 4
	v_cvt_f32_ubyte0_e32 v3, v3
	v_cvt_f32_ubyte0_e32 v10, v10
	;; [unrolled: 1-line block ×3, first 2 shown]
	v_lshrrev_b16 v2, 4, v2
	v_cvt_f32_ubyte0_e32 v8, v8
	v_and_b32_e32 v13, 15, v1
	v_cvt_f32_ubyte0_e32 v9, v9
	v_cvt_f32_ubyte0_e32 v12, v0
	s_wait_loadcnt 0x0
	v_fma_mixlo_f16 v0, v7, v3, v7 op_sel:[0,0,1] op_sel_hi:[1,0,1]
	v_fma_mixlo_f16 v1, v7, v10, v7 op_sel:[0,0,1] op_sel_hi:[1,0,1]
	;; [unrolled: 1-line block ×3, first 2 shown]
	v_cvt_f32_ubyte0_e32 v10, v2
	v_fma_mixlo_f16 v2, v7, v8, v7 op_sel:[0,0,1] op_sel_hi:[1,0,1]
	v_cvt_f32_ubyte0_e32 v8, v13
	v_fma_mixhi_f16 v1, v7, v12, v7 op_sel:[0,0,1] op_sel_hi:[1,0,1]
	v_fma_mixhi_f16 v0, v7, v9, v7 op_sel:[0,0,1] op_sel_hi:[1,0,1]
	;; [unrolled: 1-line block ×3, first 2 shown]
	s_delay_alu instid0(VALU_DEP_4)
	v_fma_mixhi_f16 v2, v7, v8, v7 op_sel:[0,0,1] op_sel_hi:[1,0,1]
	s_clause 0x1
	global_store_b64 v[4:5], v[0:1], off
	global_store_b64 v[4:5], v[2:3], off offset:32
.LBB3_2:
	s_endpgm
	.section	.rodata,"a",@progbits
	.p2align	6, 0x0
	.amdhsa_kernel _ZL21dequantize_block_q4_1I6__halfEvPKvPT_i
		.amdhsa_group_segment_fixed_size 0
		.amdhsa_private_segment_fixed_size 0
		.amdhsa_kernarg_size 20
		.amdhsa_user_sgpr_count 2
		.amdhsa_user_sgpr_dispatch_ptr 0
		.amdhsa_user_sgpr_queue_ptr 0
		.amdhsa_user_sgpr_kernarg_segment_ptr 1
		.amdhsa_user_sgpr_dispatch_id 0
		.amdhsa_user_sgpr_private_segment_size 0
		.amdhsa_wavefront_size32 1
		.amdhsa_uses_dynamic_stack 0
		.amdhsa_enable_private_segment 0
		.amdhsa_system_sgpr_workgroup_id_x 1
		.amdhsa_system_sgpr_workgroup_id_y 0
		.amdhsa_system_sgpr_workgroup_id_z 0
		.amdhsa_system_sgpr_workgroup_info 0
		.amdhsa_system_vgpr_workitem_id 0
		.amdhsa_next_free_vgpr 14
		.amdhsa_next_free_sgpr 8
		.amdhsa_reserve_vcc 1
		.amdhsa_float_round_mode_32 0
		.amdhsa_float_round_mode_16_64 0
		.amdhsa_float_denorm_mode_32 3
		.amdhsa_float_denorm_mode_16_64 3
		.amdhsa_fp16_overflow 0
		.amdhsa_workgroup_processor_mode 1
		.amdhsa_memory_ordered 1
		.amdhsa_forward_progress 1
		.amdhsa_inst_pref_size 4
		.amdhsa_round_robin_scheduling 0
		.amdhsa_exception_fp_ieee_invalid_op 0
		.amdhsa_exception_fp_denorm_src 0
		.amdhsa_exception_fp_ieee_div_zero 0
		.amdhsa_exception_fp_ieee_overflow 0
		.amdhsa_exception_fp_ieee_underflow 0
		.amdhsa_exception_fp_ieee_inexact 0
		.amdhsa_exception_int_div_zero 0
	.end_amdhsa_kernel
	.section	.text._ZL21dequantize_block_q4_1I6__halfEvPKvPT_i,"axG",@progbits,_ZL21dequantize_block_q4_1I6__halfEvPKvPT_i,comdat
.Lfunc_end3:
	.size	_ZL21dequantize_block_q4_1I6__halfEvPKvPT_i, .Lfunc_end3-_ZL21dequantize_block_q4_1I6__halfEvPKvPT_i
                                        ; -- End function
	.set _ZL21dequantize_block_q4_1I6__halfEvPKvPT_i.num_vgpr, 14
	.set _ZL21dequantize_block_q4_1I6__halfEvPKvPT_i.num_agpr, 0
	.set _ZL21dequantize_block_q4_1I6__halfEvPKvPT_i.numbered_sgpr, 8
	.set _ZL21dequantize_block_q4_1I6__halfEvPKvPT_i.num_named_barrier, 0
	.set _ZL21dequantize_block_q4_1I6__halfEvPKvPT_i.private_seg_size, 0
	.set _ZL21dequantize_block_q4_1I6__halfEvPKvPT_i.uses_vcc, 1
	.set _ZL21dequantize_block_q4_1I6__halfEvPKvPT_i.uses_flat_scratch, 0
	.set _ZL21dequantize_block_q4_1I6__halfEvPKvPT_i.has_dyn_sized_stack, 0
	.set _ZL21dequantize_block_q4_1I6__halfEvPKvPT_i.has_recursion, 0
	.set _ZL21dequantize_block_q4_1I6__halfEvPKvPT_i.has_indirect_call, 0
	.section	.AMDGPU.csdata,"",@progbits
; Kernel info:
; codeLenInByte = 436
; TotalNumSgprs: 10
; NumVgprs: 14
; ScratchSize: 0
; MemoryBound: 0
; FloatMode: 240
; IeeeMode: 1
; LDSByteSize: 0 bytes/workgroup (compile time only)
; SGPRBlocks: 0
; VGPRBlocks: 1
; NumSGPRsForWavesPerEU: 10
; NumVGPRsForWavesPerEU: 14
; Occupancy: 16
; WaveLimiterHint : 0
; COMPUTE_PGM_RSRC2:SCRATCH_EN: 0
; COMPUTE_PGM_RSRC2:USER_SGPR: 2
; COMPUTE_PGM_RSRC2:TRAP_HANDLER: 0
; COMPUTE_PGM_RSRC2:TGID_X_EN: 1
; COMPUTE_PGM_RSRC2:TGID_Y_EN: 0
; COMPUTE_PGM_RSRC2:TGID_Z_EN: 0
; COMPUTE_PGM_RSRC2:TIDIG_COMP_CNT: 0
	.section	.text._ZL21dequantize_block_q2_KI6__halfEvPKvPT_,"axG",@progbits,_ZL21dequantize_block_q2_KI6__halfEvPKvPT_,comdat
	.globl	_ZL21dequantize_block_q2_KI6__halfEvPKvPT_ ; -- Begin function _ZL21dequantize_block_q2_KI6__halfEvPKvPT_
	.p2align	8
	.type	_ZL21dequantize_block_q2_KI6__halfEvPKvPT_,@function
_ZL21dequantize_block_q2_KI6__halfEvPKvPT_: ; @_ZL21dequantize_block_q2_KI6__halfEvPKvPT_
; %bb.0:
	s_load_b128 s[0:3], s[0:1], 0x0
	v_lshrrev_b32_e32 v3, 5, v0
	s_mov_b32 s4, ttmp9
	s_mov_b32 s5, 0
	v_bfe_u32 v2, v0, 4, 1
	s_mul_u64 s[6:7], s[4:5], 0x54
	v_lshlrev_b32_e32 v1, 3, v3
	s_wait_kmcnt 0x0
	s_add_nc_u64 s[0:1], s[0:1], s[6:7]
	s_delay_alu instid0(VALU_DEP_1) | instid1(SALU_CYCLE_1)
	v_add_co_u32 v1, s6, s0, v1
	s_delay_alu instid0(VALU_DEP_1) | instskip(SKIP_2) | instid1(VALU_DEP_1)
	v_add_co_ci_u32_e64 v4, null, s1, 0, s6
	global_load_u8 v5, v0, s[0:1] offset:16
	v_add_co_u32 v1, vcc_lo, v1, v2
	v_add_co_ci_u32_e64 v2, null, 0, v4, vcc_lo
	s_clause 0x3
	global_load_u8 v4, v[1:2], off
	global_load_u8 v6, v[1:2], off offset:2
	global_load_u8 v7, v[1:2], off offset:4
	;; [unrolled: 1-line block ×3, first 2 shown]
	s_load_b32 s6, s[0:1], 0x50
	s_lshl_b64 s[0:1], s[4:5], 9
	s_wait_alu 0xfffe
	s_add_nc_u64 s[0:1], s[2:3], s[0:1]
	s_wait_loadcnt 0x4
	v_and_b32_e32 v8, 3, v5
	v_bfe_u32 v9, v5, 2, 2
	v_bfe_u32 v10, v5, 4, 2
	v_lshrrev_b32_e32 v5, 6, v5
	s_delay_alu instid0(VALU_DEP_4) | instskip(NEXT) | instid1(VALU_DEP_4)
	v_cvt_f32_ubyte0_e32 v8, v8
	v_cvt_f32_ubyte0_e32 v9, v9
	s_wait_loadcnt 0x1
	v_and_b32_e32 v13, 15, v7
	s_wait_loadcnt 0x0
	v_and_b32_e32 v14, 15, v1
	v_lshrrev_b32_e32 v1, 4, v1
	v_lshrrev_b32_e32 v7, 4, v7
	v_cvt_f32_ubyte0_e32 v10, v10
	v_cvt_f32_ubyte0_e32 v13, v13
	v_lshlrev_b32_e32 v2, 8, v3
	v_cvt_f32_ubyte0_e32 v1, v1
	v_cvt_f32_ubyte0_e32 v7, v7
	;; [unrolled: 1-line block ×4, first 2 shown]
	s_wait_alu 0xfffe
	v_add_co_u32 v2, s0, s0, v2
	s_wait_alu 0xf1ff
	v_add_co_ci_u32_e64 v3, null, s1, 0, s0
	s_wait_kmcnt 0x0
	s_cvt_hi_f32_f16 s1, s6
	v_and_b32_e32 v12, 15, v6
	v_lshrrev_b32_e32 v6, 4, v6
	s_cvt_f32_f16 s0, s6
	s_wait_alu 0xfffe
	v_mul_f32_e32 v15, s1, v1
	v_mul_f32_e32 v7, s1, v7
	v_cvt_f32_ubyte0_e32 v12, v12
	v_cvt_f32_ubyte0_e32 v6, v6
	v_and_b32_e32 v11, 15, v4
	v_lshrrev_b32_e32 v4, 4, v4
	s_delay_alu instid0(VALU_DEP_4) | instskip(NEXT) | instid1(VALU_DEP_4)
	v_dual_mul_f32 v13, s0, v13 :: v_dual_mul_f32 v12, s0, v12
	v_mul_f32_e32 v6, s1, v6
	s_delay_alu instid0(VALU_DEP_4) | instskip(SKIP_2) | instid1(VALU_DEP_3)
	v_cvt_f32_ubyte0_e32 v11, v11
	v_and_b32_e32 v0, 31, v0
	v_cvt_f32_ubyte0_e32 v4, v4
	v_dual_mul_f32 v14, s0, v14 :: v_dual_mul_f32 v11, s0, v11
	s_delay_alu instid0(VALU_DEP_3) | instskip(NEXT) | instid1(VALU_DEP_3)
	v_lshlrev_b32_e32 v0, 1, v0
	v_mul_f32_e32 v4, s1, v4
	s_delay_alu instid0(VALU_DEP_3) | instskip(NEXT) | instid1(VALU_DEP_3)
	v_fma_mixlo_f16 v5, v14, v5, -v15
	v_add_co_u32 v0, vcc_lo, v2, v0
	s_wait_alu 0xfffd
	v_add_co_ci_u32_e64 v1, null, 0, v3, vcc_lo
	v_fma_mixlo_f16 v2, v11, v8, -v4
	v_fma_mixlo_f16 v3, v12, v9, -v6
	;; [unrolled: 1-line block ×3, first 2 shown]
	s_clause 0x3
	global_store_b16 v[0:1], v2, off
	global_store_b16 v[0:1], v3, off offset:64
	global_store_b16 v[0:1], v4, off offset:128
	;; [unrolled: 1-line block ×3, first 2 shown]
	s_endpgm
	.section	.rodata,"a",@progbits
	.p2align	6, 0x0
	.amdhsa_kernel _ZL21dequantize_block_q2_KI6__halfEvPKvPT_
		.amdhsa_group_segment_fixed_size 0
		.amdhsa_private_segment_fixed_size 0
		.amdhsa_kernarg_size 16
		.amdhsa_user_sgpr_count 2
		.amdhsa_user_sgpr_dispatch_ptr 0
		.amdhsa_user_sgpr_queue_ptr 0
		.amdhsa_user_sgpr_kernarg_segment_ptr 1
		.amdhsa_user_sgpr_dispatch_id 0
		.amdhsa_user_sgpr_private_segment_size 0
		.amdhsa_wavefront_size32 1
		.amdhsa_uses_dynamic_stack 0
		.amdhsa_enable_private_segment 0
		.amdhsa_system_sgpr_workgroup_id_x 1
		.amdhsa_system_sgpr_workgroup_id_y 0
		.amdhsa_system_sgpr_workgroup_id_z 0
		.amdhsa_system_sgpr_workgroup_info 0
		.amdhsa_system_vgpr_workitem_id 0
		.amdhsa_next_free_vgpr 16
		.amdhsa_next_free_sgpr 8
		.amdhsa_reserve_vcc 1
		.amdhsa_float_round_mode_32 0
		.amdhsa_float_round_mode_16_64 0
		.amdhsa_float_denorm_mode_32 3
		.amdhsa_float_denorm_mode_16_64 3
		.amdhsa_fp16_overflow 0
		.amdhsa_workgroup_processor_mode 1
		.amdhsa_memory_ordered 1
		.amdhsa_forward_progress 1
		.amdhsa_inst_pref_size 4
		.amdhsa_round_robin_scheduling 0
		.amdhsa_exception_fp_ieee_invalid_op 0
		.amdhsa_exception_fp_denorm_src 0
		.amdhsa_exception_fp_ieee_div_zero 0
		.amdhsa_exception_fp_ieee_overflow 0
		.amdhsa_exception_fp_ieee_underflow 0
		.amdhsa_exception_fp_ieee_inexact 0
		.amdhsa_exception_int_div_zero 0
	.end_amdhsa_kernel
	.section	.text._ZL21dequantize_block_q2_KI6__halfEvPKvPT_,"axG",@progbits,_ZL21dequantize_block_q2_KI6__halfEvPKvPT_,comdat
.Lfunc_end4:
	.size	_ZL21dequantize_block_q2_KI6__halfEvPKvPT_, .Lfunc_end4-_ZL21dequantize_block_q2_KI6__halfEvPKvPT_
                                        ; -- End function
	.set _ZL21dequantize_block_q2_KI6__halfEvPKvPT_.num_vgpr, 16
	.set _ZL21dequantize_block_q2_KI6__halfEvPKvPT_.num_agpr, 0
	.set _ZL21dequantize_block_q2_KI6__halfEvPKvPT_.numbered_sgpr, 8
	.set _ZL21dequantize_block_q2_KI6__halfEvPKvPT_.num_named_barrier, 0
	.set _ZL21dequantize_block_q2_KI6__halfEvPKvPT_.private_seg_size, 0
	.set _ZL21dequantize_block_q2_KI6__halfEvPKvPT_.uses_vcc, 1
	.set _ZL21dequantize_block_q2_KI6__halfEvPKvPT_.uses_flat_scratch, 0
	.set _ZL21dequantize_block_q2_KI6__halfEvPKvPT_.has_dyn_sized_stack, 0
	.set _ZL21dequantize_block_q2_KI6__halfEvPKvPT_.has_recursion, 0
	.set _ZL21dequantize_block_q2_KI6__halfEvPKvPT_.has_indirect_call, 0
	.section	.AMDGPU.csdata,"",@progbits
; Kernel info:
; codeLenInByte = 500
; TotalNumSgprs: 10
; NumVgprs: 16
; ScratchSize: 0
; MemoryBound: 0
; FloatMode: 240
; IeeeMode: 1
; LDSByteSize: 0 bytes/workgroup (compile time only)
; SGPRBlocks: 0
; VGPRBlocks: 1
; NumSGPRsForWavesPerEU: 10
; NumVGPRsForWavesPerEU: 16
; Occupancy: 16
; WaveLimiterHint : 0
; COMPUTE_PGM_RSRC2:SCRATCH_EN: 0
; COMPUTE_PGM_RSRC2:USER_SGPR: 2
; COMPUTE_PGM_RSRC2:TRAP_HANDLER: 0
; COMPUTE_PGM_RSRC2:TGID_X_EN: 1
; COMPUTE_PGM_RSRC2:TGID_Y_EN: 0
; COMPUTE_PGM_RSRC2:TGID_Z_EN: 0
; COMPUTE_PGM_RSRC2:TIDIG_COMP_CNT: 0
	.section	.text._ZL21dequantize_block_q3_KI6__halfEvPKvPT_,"axG",@progbits,_ZL21dequantize_block_q3_KI6__halfEvPKvPT_,comdat
	.globl	_ZL21dequantize_block_q3_KI6__halfEvPKvPT_ ; -- Begin function _ZL21dequantize_block_q3_KI6__halfEvPKvPT_
	.p2align	8
	.type	_ZL21dequantize_block_q3_KI6__halfEvPKvPT_,@function
_ZL21dequantize_block_q3_KI6__halfEvPKvPT_: ; @_ZL21dequantize_block_q3_KI6__halfEvPKvPT_
; %bb.0:
	v_lshrrev_b32_e32 v9, 5, v0
	v_lshrrev_b32_e32 v10, 3, v0
	;; [unrolled: 1-line block ×3, first 2 shown]
	s_load_b64 s[4:5], s[0:1], 0x0
	v_bfe_u32 v11, v0, 2, 1
	v_lshlrev_b32_e32 v1, 2, v9
	s_mov_b32 s2, ttmp9
	v_and_b32_e32 v5, 0xf8, v5
	s_mov_b32 s8, exec_lo
                                        ; implicit-def: $vgpr12
	s_delay_alu instid0(VALU_DEP_2) | instskip(NEXT) | instid1(VALU_DEP_1)
	v_sub_co_u32 v3, s3, v10, v1
	v_sub_co_ci_u32_e64 v4, null, 0, 0, s3
	s_mov_b32 s3, 0
	s_wait_alu 0xfffe
	s_mul_u64 s[6:7], s[2:3], 0x6e
	v_lshlrev_b64_e32 v[1:2], 1, v[3:4]
	s_delay_alu instid0(VALU_DEP_1) | instskip(NEXT) | instid1(VALU_DEP_1)
	v_add_co_u32 v7, vcc_lo, v1, v5
	v_add_co_ci_u32_e64 v8, null, 0, v2, vcc_lo
                                        ; implicit-def: $vgpr2
	s_delay_alu instid0(VALU_DEP_2) | instskip(NEXT) | instid1(VALU_DEP_2)
	v_or_b32_e32 v5, v7, v11
	v_mov_b32_e32 v6, v8
	s_delay_alu instid0(VALU_DEP_1)
	v_cmpx_lt_i64_e32 3, v[5:6]
	s_xor_b32 s8, exec_lo, s8
	s_cbranch_execz .LBB5_10
; %bb.1:
	s_mov_b32 s9, exec_lo
                                        ; implicit-def: $vgpr12
                                        ; implicit-def: $vgpr2
	v_cmpx_lt_u64_e32 7, v[7:8]
	s_xor_b32 s9, exec_lo, s9
	s_cbranch_execz .LBB5_7
; %bb.2:
	s_wait_kmcnt 0x0
	s_add_nc_u64 s[10:11], s[4:5], s[6:7]
                                        ; implicit-def: $vgpr2
	s_delay_alu instid0(SALU_CYCLE_1)
	v_add_co_u32 v5, vcc_lo, s10, v5
	s_wait_alu 0xfffd
	v_add_co_ci_u32_e64 v6, null, s11, v6, vcc_lo
	s_mov_b32 s10, exec_lo
	global_load_u8 v12, v[5:6], off offset:88
	v_cmpx_lt_u64_e32 11, v[7:8]
	s_wait_alu 0xfffe
	s_xor_b32 s10, exec_lo, s10
	s_cbranch_execz .LBB5_4
; %bb.3:
	global_load_u8 v2, v[5:6], off offset:92
                                        ; implicit-def: $vgpr5_vgpr6
	s_wait_loadcnt 0x0
	v_lshrrev_b16 v2, 2, v2
.LBB5_4:
	s_wait_alu 0xfffe
	s_and_not1_saveexec_b32 s10, s10
	s_cbranch_execz .LBB5_6
; %bb.5:
	global_load_u8 v2, v[5:6], off offset:96
.LBB5_6:
	s_wait_alu 0xfffe
	s_or_b32 exec_lo, exec_lo, s10
	s_wait_loadcnt 0x0
	v_lshrrev_b16 v12, 4, v12
                                        ; implicit-def: $vgpr5_vgpr6
.LBB5_7:
	s_and_not1_saveexec_b32 s9, s9
	s_cbranch_execz .LBB5_9
; %bb.8:
	s_wait_kmcnt 0x0
	s_add_nc_u64 s[10:11], s[4:5], s[6:7]
	s_wait_alu 0xfffe
	v_add_co_u32 v5, vcc_lo, s10, v5
	s_wait_alu 0xfffd
	v_add_co_ci_u32_e64 v6, null, s11, v6, vcc_lo
	s_clause 0x1
	global_load_u8 v2, v[5:6], off offset:96
	global_load_u8 v5, v[5:6], off offset:100
	s_wait_loadcnt 0x1
	v_and_b32_e32 v12, 15, v2
	s_wait_loadcnt 0x0
	v_lshlrev_b16 v2, 2, v5
.LBB5_9:
	s_or_b32 exec_lo, exec_lo, s9
                                        ; implicit-def: $vgpr5_vgpr6
.LBB5_10:
	s_or_saveexec_b32 s10, s8
	s_load_b64 s[8:9], s[0:1], 0x8
	s_xor_b32 exec_lo, exec_lo, s10
	s_cbranch_execz .LBB5_12
; %bb.11:
	s_wait_kmcnt 0x0
	s_add_nc_u64 s[0:1], s[4:5], s[6:7]
	s_delay_alu instid0(SALU_CYCLE_1)
	v_add_co_u32 v5, vcc_lo, s0, v5
	s_wait_alu 0xfffd
	v_add_co_ci_u32_e64 v6, null, s1, v6, vcc_lo
	s_clause 0x1
	global_load_u8 v2, v[5:6], off offset:96
	global_load_u8 v5, v[5:6], off offset:104
	s_wait_loadcnt 0x1
	v_and_b32_e32 v12, 15, v2
	s_wait_loadcnt 0x0
	v_lshlrev_b16 v2, 4, v5
.LBB5_12:
	s_or_b32 exec_lo, exec_lo, s10
	v_lshlrev_b32_e32 v0, 2, v0
	v_lshlrev_b32_e32 v5, 5, v9
	s_wait_kmcnt 0x0
	s_add_nc_u64 s[0:1], s[4:5], s[6:7]
	s_lshl_b64 s[2:3], s[2:3], 9
	s_wait_alu 0xfffe
	s_add_nc_u64 s[2:3], s[8:9], s[2:3]
	v_and_b32_e32 v0, 12, v0
	s_delay_alu instid0(VALU_DEP_1) | instskip(SKIP_1) | instid1(VALU_DEP_1)
	v_lshl_or_b32 v7, v11, 4, v0
	v_add_co_u32 v0, s4, s0, v5
	v_add_co_ci_u32_e64 v6, null, s1, 0, s4
	s_delay_alu instid0(VALU_DEP_2) | instskip(SKIP_1) | instid1(VALU_DEP_2)
	v_add_co_u32 v5, vcc_lo, v0, v7
	s_wait_alu 0xfffd
	v_add_co_ci_u32_e64 v6, null, 0, v6, vcc_lo
	s_clause 0x1
	global_load_u8 v8, v7, s[0:1]
	global_load_u8 v11, v[5:6], off offset:32
	v_mov_b32_e32 v0, 0
	global_load_u16 v13, v0, s[0:1] offset:108
	v_and_b32_e32 v0, 48, v2
	s_delay_alu instid0(VALU_DEP_1) | instskip(SKIP_1) | instid1(VALU_DEP_2)
	v_or_b32_e32 v2, v0, v12
	v_lshlrev_b32_e64 v0, v10, 1
	v_and_b32_e32 v10, 0xff, v2
	v_lshlrev_b64_e32 v[2:3], 6, v[3:4]
	s_delay_alu instid0(VALU_DEP_2) | instskip(NEXT) | instid1(VALU_DEP_1)
	v_subrev_nc_u32_e32 v4, 32, v10
	v_cvt_f32_i32_e32 v4, v4
	s_wait_loadcnt 0x2
	v_and_b32_e32 v8, v0, v8
	s_wait_loadcnt 0x1
	v_lshrrev_b32_e32 v10, v1, v11
	s_delay_alu instid0(VALU_DEP_2)
	v_cmp_eq_u32_e32 vcc_lo, 0, v8
	s_wait_loadcnt 0x0
	v_cvt_f32_f16_e32 v12, v13
	v_lshlrev_b32_e32 v9, 8, v9
	s_wait_alu 0xfffd
	v_cndmask_b32_e64 v8, 0, -4, vcc_lo
	s_delay_alu instid0(VALU_DEP_3)
	v_mul_f32_e32 v4, v12, v4
	s_wait_alu 0xfffe
	v_add_co_u32 v9, s2, s2, v9
	s_wait_alu 0xf1ff
	v_add_co_ci_u32_e64 v11, null, s3, 0, s2
	v_and_or_b32 v8, v10, 3, v8
	s_delay_alu instid0(VALU_DEP_3)
	v_add_co_u32 v2, vcc_lo, v9, v2
	v_lshlrev_b32_e32 v10, 1, v7
	s_wait_alu 0xfffd
	v_add_co_ci_u32_e64 v3, null, v11, v3, vcc_lo
	v_cvt_f32_i32_e32 v8, v8
	v_add_nc_u32_e32 v9, 4, v7
	v_add_co_u32 v2, vcc_lo, v2, v10
	v_or_b32_e32 v11, 1, v7
	s_wait_alu 0xfffd
	v_add_co_ci_u32_e64 v3, null, 0, v3, vcc_lo
	v_fma_mixlo_f16 v8, v4, v8, 0
	s_mov_b32 s2, exec_lo
	global_store_b16 v[2:3], v8, off
	v_cmpx_gt_u32_e64 v9, v11
	s_cbranch_execz .LBB5_14
; %bb.13:
	v_add_co_u32 v8, s2, s0, v7
	s_wait_alu 0xf1fe
	v_add_co_ci_u32_e64 v9, null, s1, 0, s2
	s_clause 0x3
	global_load_u16 v8, v[8:9], off offset:2
	global_load_u8 v9, v[5:6], off offset:33
	global_load_u16 v5, v[5:6], off offset:34
	global_load_u8 v6, v7, s[0:1] offset:1
	s_wait_loadcnt 0x3
	v_and_b32_e32 v7, v8, v0
	v_lshrrev_b16 v8, 8, v8
	s_wait_loadcnt 0x1
	v_and_b32_e32 v10, 0xff, v5
	s_wait_loadcnt 0x0
	v_and_b32_e32 v6, v0, v6
	v_lshrrev_b16 v5, 8, v5
	v_and_b32_e32 v7, 0xff, v7
	v_and_b32_e32 v8, 0xffff, v8
	v_lshrrev_b32_e32 v10, v1, v10
	v_lshrrev_b32_e32 v9, v1, v9
	v_and_b32_e32 v5, 0xffff, v5
	v_cmp_eq_u32_e32 vcc_lo, 0, v7
	v_and_b32_e32 v0, v0, v8
	s_delay_alu instid0(VALU_DEP_3) | instskip(SKIP_3) | instid1(VALU_DEP_2)
	v_lshrrev_b32_e32 v1, v1, v5
	s_wait_alu 0xfffd
	v_cndmask_b32_e64 v7, 0, -4, vcc_lo
	v_cmp_eq_u32_e32 vcc_lo, 0, v6
	v_and_or_b32 v5, v10, 3, v7
	s_wait_alu 0xfffd
	v_cndmask_b32_e64 v6, 0, -4, vcc_lo
	v_cmp_eq_u32_e32 vcc_lo, 0, v0
	s_delay_alu instid0(VALU_DEP_3) | instskip(NEXT) | instid1(VALU_DEP_3)
	v_cvt_f32_i32_e32 v5, v5
	v_and_or_b32 v6, v9, 3, v6
	s_wait_alu 0xfffd
	v_cndmask_b32_e64 v0, 0, -4, vcc_lo
	s_delay_alu instid0(VALU_DEP_3) | instskip(NEXT) | instid1(VALU_DEP_2)
	v_fma_mixlo_f16 v5, v4, v5, 0
	v_and_or_b32 v0, v1, 3, v0
	v_cvt_f32_i32_e32 v1, v6
	s_delay_alu instid0(VALU_DEP_2) | instskip(NEXT) | instid1(VALU_DEP_2)
	v_cvt_f32_i32_e32 v0, v0
	v_fma_mixlo_f16 v1, v4, v1, 0
	s_delay_alu instid0(VALU_DEP_2)
	v_fma_mixhi_f16 v5, v4, v0, 0
	s_clause 0x1
	global_store_b16 v[2:3], v1, off offset:2
	global_store_b32 v[2:3], v5, off offset:4
.LBB5_14:
	s_endpgm
	.section	.rodata,"a",@progbits
	.p2align	6, 0x0
	.amdhsa_kernel _ZL21dequantize_block_q3_KI6__halfEvPKvPT_
		.amdhsa_group_segment_fixed_size 0
		.amdhsa_private_segment_fixed_size 0
		.amdhsa_kernarg_size 16
		.amdhsa_user_sgpr_count 2
		.amdhsa_user_sgpr_dispatch_ptr 0
		.amdhsa_user_sgpr_queue_ptr 0
		.amdhsa_user_sgpr_kernarg_segment_ptr 1
		.amdhsa_user_sgpr_dispatch_id 0
		.amdhsa_user_sgpr_private_segment_size 0
		.amdhsa_wavefront_size32 1
		.amdhsa_uses_dynamic_stack 0
		.amdhsa_enable_private_segment 0
		.amdhsa_system_sgpr_workgroup_id_x 1
		.amdhsa_system_sgpr_workgroup_id_y 0
		.amdhsa_system_sgpr_workgroup_id_z 0
		.amdhsa_system_sgpr_workgroup_info 0
		.amdhsa_system_vgpr_workitem_id 0
		.amdhsa_next_free_vgpr 14
		.amdhsa_next_free_sgpr 12
		.amdhsa_reserve_vcc 1
		.amdhsa_float_round_mode_32 0
		.amdhsa_float_round_mode_16_64 0
		.amdhsa_float_denorm_mode_32 3
		.amdhsa_float_denorm_mode_16_64 3
		.amdhsa_fp16_overflow 0
		.amdhsa_workgroup_processor_mode 1
		.amdhsa_memory_ordered 1
		.amdhsa_forward_progress 1
		.amdhsa_inst_pref_size 9
		.amdhsa_round_robin_scheduling 0
		.amdhsa_exception_fp_ieee_invalid_op 0
		.amdhsa_exception_fp_denorm_src 0
		.amdhsa_exception_fp_ieee_div_zero 0
		.amdhsa_exception_fp_ieee_overflow 0
		.amdhsa_exception_fp_ieee_underflow 0
		.amdhsa_exception_fp_ieee_inexact 0
		.amdhsa_exception_int_div_zero 0
	.end_amdhsa_kernel
	.section	.text._ZL21dequantize_block_q3_KI6__halfEvPKvPT_,"axG",@progbits,_ZL21dequantize_block_q3_KI6__halfEvPKvPT_,comdat
.Lfunc_end5:
	.size	_ZL21dequantize_block_q3_KI6__halfEvPKvPT_, .Lfunc_end5-_ZL21dequantize_block_q3_KI6__halfEvPKvPT_
                                        ; -- End function
	.set _ZL21dequantize_block_q3_KI6__halfEvPKvPT_.num_vgpr, 14
	.set _ZL21dequantize_block_q3_KI6__halfEvPKvPT_.num_agpr, 0
	.set _ZL21dequantize_block_q3_KI6__halfEvPKvPT_.numbered_sgpr, 12
	.set _ZL21dequantize_block_q3_KI6__halfEvPKvPT_.num_named_barrier, 0
	.set _ZL21dequantize_block_q3_KI6__halfEvPKvPT_.private_seg_size, 0
	.set _ZL21dequantize_block_q3_KI6__halfEvPKvPT_.uses_vcc, 1
	.set _ZL21dequantize_block_q3_KI6__halfEvPKvPT_.uses_flat_scratch, 0
	.set _ZL21dequantize_block_q3_KI6__halfEvPKvPT_.has_dyn_sized_stack, 0
	.set _ZL21dequantize_block_q3_KI6__halfEvPKvPT_.has_recursion, 0
	.set _ZL21dequantize_block_q3_KI6__halfEvPKvPT_.has_indirect_call, 0
	.section	.AMDGPU.csdata,"",@progbits
; Kernel info:
; codeLenInByte = 1152
; TotalNumSgprs: 14
; NumVgprs: 14
; ScratchSize: 0
; MemoryBound: 0
; FloatMode: 240
; IeeeMode: 1
; LDSByteSize: 0 bytes/workgroup (compile time only)
; SGPRBlocks: 0
; VGPRBlocks: 1
; NumSGPRsForWavesPerEU: 14
; NumVGPRsForWavesPerEU: 14
; Occupancy: 16
; WaveLimiterHint : 0
; COMPUTE_PGM_RSRC2:SCRATCH_EN: 0
; COMPUTE_PGM_RSRC2:USER_SGPR: 2
; COMPUTE_PGM_RSRC2:TRAP_HANDLER: 0
; COMPUTE_PGM_RSRC2:TGID_X_EN: 1
; COMPUTE_PGM_RSRC2:TGID_Y_EN: 0
; COMPUTE_PGM_RSRC2:TGID_Z_EN: 0
; COMPUTE_PGM_RSRC2:TIDIG_COMP_CNT: 0
	.section	.text._ZL21dequantize_block_q4_KI6__halfEvPKvPT_,"axG",@progbits,_ZL21dequantize_block_q4_KI6__halfEvPKvPT_,comdat
	.globl	_ZL21dequantize_block_q4_KI6__halfEvPKvPT_ ; -- Begin function _ZL21dequantize_block_q4_KI6__halfEvPKvPT_
	.p2align	8
	.type	_ZL21dequantize_block_q4_KI6__halfEvPKvPT_,@function
_ZL21dequantize_block_q4_KI6__halfEvPKvPT_: ; @_ZL21dequantize_block_q4_KI6__halfEvPKvPT_
; %bb.0:
	s_load_b64 s[4:5], s[0:1], 0x0
	v_lshrrev_b32_e32 v3, 3, v0
	s_mov_b32 s2, ttmp9
	s_mov_b32 s3, 0
	v_cmp_lt_u32_e32 vcc_lo, 15, v0
	s_mul_u64 s[6:7], s[2:3], 0x90
	v_lshlrev_b32_e32 v1, 1, v3
                                        ; implicit-def: $vgpr5
                                        ; implicit-def: $vgpr4
	s_wait_kmcnt 0x0
	s_add_nc_u64 s[4:5], s[4:5], s[6:7]
	s_delay_alu instid0(VALU_DEP_1) | instid1(SALU_CYCLE_1)
	v_add_co_u32 v1, s6, s4, v1
	s_delay_alu instid0(VALU_DEP_1)
	v_add_co_ci_u32_e64 v2, null, s5, 0, s6
	s_and_saveexec_b32 s6, vcc_lo
	s_wait_alu 0xfffe
	s_xor_b32 s6, exec_lo, s6
	s_cbranch_execz .LBB6_2
; %bb.1:
	s_clause 0x2
	global_load_u8 v4, v[1:2], off
	global_load_u8 v5, v[1:2], off offset:4
	global_load_u8 v6, v[1:2], off offset:8
	s_wait_loadcnt 0x2
	v_lshrrev_b16 v4, 2, v4
	s_wait_loadcnt 0x1
	v_lshrrev_b16 v5, 2, v5
	s_wait_loadcnt 0x0
	v_and_b32_e32 v7, 15, v6
	v_lshrrev_b16 v6, 4, v6
	v_and_b32_e32 v4, 48, v4
	v_and_b32_e32 v5, 48, v5
	s_delay_alu instid0(VALU_DEP_2) | instskip(NEXT) | instid1(VALU_DEP_2)
	v_or_b32_e32 v4, v4, v7
	v_or_b32_e32 v5, v5, v6
.LBB6_2:
	s_wait_alu 0xfffe
	s_and_not1_saveexec_b32 s6, s6
	s_cbranch_execz .LBB6_4
; %bb.3:
	s_clause 0x1
	global_load_u8 v4, v[1:2], off offset:4
	global_load_u8 v5, v[1:2], off offset:8
	s_wait_loadcnt 0x1
	v_and_b32_e32 v4, 63, v4
	s_wait_loadcnt 0x0
	v_and_b32_e32 v5, 63, v5
.LBB6_4:
	s_wait_alu 0xfffe
	s_or_b32 exec_lo, exec_lo, s6
	s_load_b32 s4, s[4:5], 0x0
                                        ; implicit-def: $vgpr7
                                        ; implicit-def: $vgpr6
	s_and_saveexec_b32 s5, vcc_lo
	s_wait_alu 0xfffe
	s_xor_b32 s5, exec_lo, s5
	s_cbranch_execz .LBB6_6
; %bb.5:
	s_clause 0x2
	global_load_u8 v6, v[1:2], off offset:1
	global_load_u8 v7, v[1:2], off offset:5
	;; [unrolled: 1-line block ×3, first 2 shown]
	s_wait_loadcnt 0x2
	v_lshrrev_b16 v6, 2, v6
	s_wait_loadcnt 0x1
	v_lshrrev_b16 v7, 2, v7
	s_wait_loadcnt 0x0
	v_and_b32_e32 v9, 15, v8
	v_lshrrev_b16 v8, 4, v8
	v_and_b32_e32 v6, 48, v6
	v_and_b32_e32 v7, 48, v7
	s_delay_alu instid0(VALU_DEP_2) | instskip(NEXT) | instid1(VALU_DEP_2)
	v_or_b32_e32 v6, v6, v9
	v_or_b32_e32 v7, v7, v8
.LBB6_6:
	s_wait_alu 0xfffe
	s_or_saveexec_b32 s5, s5
	s_load_b64 s[0:1], s[0:1], 0x8
	s_xor_b32 exec_lo, exec_lo, s5
	s_cbranch_execz .LBB6_8
; %bb.7:
	s_clause 0x1
	global_load_u8 v6, v[1:2], off offset:5
	global_load_u8 v7, v[1:2], off offset:9
	s_wait_loadcnt 0x1
	v_and_b32_e32 v6, 63, v6
	s_wait_loadcnt 0x0
	v_and_b32_e32 v7, 63, v7
.LBB6_8:
	s_or_b32 exec_lo, exec_lo, s5
	s_wait_kmcnt 0x0
	s_cvt_hi_f32_f16 s5, s4
	v_lshlrev_b32_e32 v8, 2, v0
	v_mad_co_u64_u32 v[0:1], null, v3, 30, v[1:2]
	s_cvt_f32_f16 s4, s4
	v_cvt_f32_ubyte0_e32 v4, v4
	v_and_b32_e32 v2, 28, v8
	v_lshlrev_b32_e32 v3, 7, v3
	s_lshl_b64 s[2:3], s[2:3], 9
	s_delay_alu instid0(SALU_CYCLE_1) | instskip(NEXT) | instid1(VALU_DEP_2)
	s_add_nc_u64 s[0:1], s[0:1], s[2:3]
	v_add_co_u32 v0, vcc_lo, v0, v2
	s_delay_alu instid0(VALU_DEP_1)
	v_add_co_ci_u32_e64 v1, null, 0, v1, vcc_lo
	s_wait_alu 0xfffe
	v_mul_f32_e32 v8, s4, v4
	v_add_co_u32 v4, s0, s0, v3
	global_load_b32 v0, v[0:1], off offset:16
	v_cvt_f32_ubyte0_e32 v1, v5
	v_cvt_f32_ubyte0_e32 v5, v6
	;; [unrolled: 1-line block ×3, first 2 shown]
	s_wait_alu 0xf1ff
	v_add_co_ci_u32_e64 v9, null, s1, 0, s0
	v_mul_f32_e32 v7, s5, v1
	v_dual_mul_f32 v10, s4, v5 :: v_dual_lshlrev_b32 v5, 1, v2
	v_mul_f32_e32 v6, s5, v6
	s_delay_alu instid0(VALU_DEP_2)
	v_add_co_u32 v4, vcc_lo, v4, v5
	s_wait_alu 0xfffd
	v_add_co_ci_u32_e64 v5, null, 0, v9, vcc_lo
	s_wait_loadcnt 0x0
	v_lshrrev_b32_e32 v1, 8, v0
	v_lshrrev_b16 v11, 4, v0
	v_and_b32_e32 v3, 15, v0
	v_bfe_u32 v13, v0, 16, 4
	v_lshrrev_b32_e32 v2, 24, v0
	v_bfe_u32 v14, v0, 20, 4
	v_and_b32_e32 v11, 15, v11
	v_lshrrev_b16 v1, 4, v1
	v_bfe_u32 v12, v0, 8, 4
	v_bfe_u32 v0, v0, 24, 4
	v_cvt_f32_ubyte0_e32 v3, v3
	v_cvt_f32_ubyte0_e32 v13, v13
	;; [unrolled: 1-line block ×3, first 2 shown]
	v_lshrrev_b16 v2, 4, v2
	v_cvt_f32_ubyte0_e32 v11, v11
	v_and_b32_e32 v16, 15, v1
	v_cvt_f32_ubyte0_e32 v12, v12
	v_cvt_f32_ubyte0_e32 v15, v0
	v_fma_mixlo_f16 v0, v8, v3, -v7
	v_fma_mixlo_f16 v1, v8, v13, -v7
	;; [unrolled: 1-line block ×3, first 2 shown]
	v_cvt_f32_ubyte0_e32 v13, v2
	v_fma_mixlo_f16 v2, v10, v11, -v6
	v_cvt_f32_ubyte0_e32 v11, v16
	v_fma_mixhi_f16 v1, v8, v15, -v7
	v_fma_mixhi_f16 v0, v8, v12, -v7
	;; [unrolled: 1-line block ×3, first 2 shown]
	s_delay_alu instid0(VALU_DEP_4)
	v_fma_mixhi_f16 v2, v10, v11, -v6
	s_clause 0x1
	global_store_b64 v[4:5], v[0:1], off
	global_store_b64 v[4:5], v[2:3], off offset:64
	s_endpgm
	.section	.rodata,"a",@progbits
	.p2align	6, 0x0
	.amdhsa_kernel _ZL21dequantize_block_q4_KI6__halfEvPKvPT_
		.amdhsa_group_segment_fixed_size 0
		.amdhsa_private_segment_fixed_size 0
		.amdhsa_kernarg_size 16
		.amdhsa_user_sgpr_count 2
		.amdhsa_user_sgpr_dispatch_ptr 0
		.amdhsa_user_sgpr_queue_ptr 0
		.amdhsa_user_sgpr_kernarg_segment_ptr 1
		.amdhsa_user_sgpr_dispatch_id 0
		.amdhsa_user_sgpr_private_segment_size 0
		.amdhsa_wavefront_size32 1
		.amdhsa_uses_dynamic_stack 0
		.amdhsa_enable_private_segment 0
		.amdhsa_system_sgpr_workgroup_id_x 1
		.amdhsa_system_sgpr_workgroup_id_y 0
		.amdhsa_system_sgpr_workgroup_id_z 0
		.amdhsa_system_sgpr_workgroup_info 0
		.amdhsa_system_vgpr_workitem_id 0
		.amdhsa_next_free_vgpr 17
		.amdhsa_next_free_sgpr 8
		.amdhsa_reserve_vcc 1
		.amdhsa_float_round_mode_32 0
		.amdhsa_float_round_mode_16_64 0
		.amdhsa_float_denorm_mode_32 3
		.amdhsa_float_denorm_mode_16_64 3
		.amdhsa_fp16_overflow 0
		.amdhsa_workgroup_processor_mode 1
		.amdhsa_memory_ordered 1
		.amdhsa_forward_progress 1
		.amdhsa_inst_pref_size 7
		.amdhsa_round_robin_scheduling 0
		.amdhsa_exception_fp_ieee_invalid_op 0
		.amdhsa_exception_fp_denorm_src 0
		.amdhsa_exception_fp_ieee_div_zero 0
		.amdhsa_exception_fp_ieee_overflow 0
		.amdhsa_exception_fp_ieee_underflow 0
		.amdhsa_exception_fp_ieee_inexact 0
		.amdhsa_exception_int_div_zero 0
	.end_amdhsa_kernel
	.section	.text._ZL21dequantize_block_q4_KI6__halfEvPKvPT_,"axG",@progbits,_ZL21dequantize_block_q4_KI6__halfEvPKvPT_,comdat
.Lfunc_end6:
	.size	_ZL21dequantize_block_q4_KI6__halfEvPKvPT_, .Lfunc_end6-_ZL21dequantize_block_q4_KI6__halfEvPKvPT_
                                        ; -- End function
	.set _ZL21dequantize_block_q4_KI6__halfEvPKvPT_.num_vgpr, 17
	.set _ZL21dequantize_block_q4_KI6__halfEvPKvPT_.num_agpr, 0
	.set _ZL21dequantize_block_q4_KI6__halfEvPKvPT_.numbered_sgpr, 8
	.set _ZL21dequantize_block_q4_KI6__halfEvPKvPT_.num_named_barrier, 0
	.set _ZL21dequantize_block_q4_KI6__halfEvPKvPT_.private_seg_size, 0
	.set _ZL21dequantize_block_q4_KI6__halfEvPKvPT_.uses_vcc, 1
	.set _ZL21dequantize_block_q4_KI6__halfEvPKvPT_.uses_flat_scratch, 0
	.set _ZL21dequantize_block_q4_KI6__halfEvPKvPT_.has_dyn_sized_stack, 0
	.set _ZL21dequantize_block_q4_KI6__halfEvPKvPT_.has_recursion, 0
	.set _ZL21dequantize_block_q4_KI6__halfEvPKvPT_.has_indirect_call, 0
	.section	.AMDGPU.csdata,"",@progbits
; Kernel info:
; codeLenInByte = 816
; TotalNumSgprs: 10
; NumVgprs: 17
; ScratchSize: 0
; MemoryBound: 0
; FloatMode: 240
; IeeeMode: 1
; LDSByteSize: 0 bytes/workgroup (compile time only)
; SGPRBlocks: 0
; VGPRBlocks: 2
; NumSGPRsForWavesPerEU: 10
; NumVGPRsForWavesPerEU: 17
; Occupancy: 16
; WaveLimiterHint : 0
; COMPUTE_PGM_RSRC2:SCRATCH_EN: 0
; COMPUTE_PGM_RSRC2:USER_SGPR: 2
; COMPUTE_PGM_RSRC2:TRAP_HANDLER: 0
; COMPUTE_PGM_RSRC2:TGID_X_EN: 1
; COMPUTE_PGM_RSRC2:TGID_Y_EN: 0
; COMPUTE_PGM_RSRC2:TGID_Z_EN: 0
; COMPUTE_PGM_RSRC2:TIDIG_COMP_CNT: 0
	.section	.text._ZL21dequantize_block_q5_KI6__halfEvPKvPT_,"axG",@progbits,_ZL21dequantize_block_q5_KI6__halfEvPKvPT_,comdat
	.globl	_ZL21dequantize_block_q5_KI6__halfEvPKvPT_ ; -- Begin function _ZL21dequantize_block_q5_KI6__halfEvPKvPT_
	.p2align	8
	.type	_ZL21dequantize_block_q5_KI6__halfEvPKvPT_,@function
_ZL21dequantize_block_q5_KI6__halfEvPKvPT_: ; @_ZL21dequantize_block_q5_KI6__halfEvPKvPT_
; %bb.0:
	s_load_b64 s[4:5], s[0:1], 0x0
	v_lshrrev_b32_e32 v4, 4, v0
	s_mov_b32 s2, ttmp9
	s_mov_b32 s3, 0
	v_cmp_lt_u32_e32 vcc_lo, 31, v0
	s_mul_u64 s[6:7], s[2:3], 0xb0
	v_lshlrev_b32_e32 v3, 1, v4
                                        ; implicit-def: $vgpr6
                                        ; implicit-def: $vgpr5
	s_wait_kmcnt 0x0
	s_add_nc_u64 s[4:5], s[4:5], s[6:7]
	s_delay_alu instid0(VALU_DEP_1) | instid1(SALU_CYCLE_1)
	v_add_co_u32 v1, s6, s4, v3
	s_delay_alu instid0(VALU_DEP_1)
	v_add_co_ci_u32_e64 v2, null, s5, 0, s6
	s_and_saveexec_b32 s6, vcc_lo
	s_wait_alu 0xfffe
	s_xor_b32 s6, exec_lo, s6
	s_cbranch_execz .LBB7_2
; %bb.1:
	s_clause 0x2
	global_load_u8 v5, v[1:2], off
	global_load_u8 v6, v[1:2], off offset:4
	global_load_u8 v7, v[1:2], off offset:8
	s_wait_loadcnt 0x2
	v_lshrrev_b16 v5, 2, v5
	s_wait_loadcnt 0x1
	v_lshrrev_b16 v6, 2, v6
	s_wait_loadcnt 0x0
	v_and_b32_e32 v8, 15, v7
	v_lshrrev_b16 v7, 4, v7
	v_and_b32_e32 v5, 48, v5
	v_and_b32_e32 v6, 48, v6
	s_delay_alu instid0(VALU_DEP_2) | instskip(NEXT) | instid1(VALU_DEP_2)
	v_or_b32_e32 v5, v5, v8
	v_or_b32_e32 v6, v6, v7
.LBB7_2:
	s_wait_alu 0xfffe
	s_and_not1_saveexec_b32 s6, s6
	s_cbranch_execz .LBB7_4
; %bb.3:
	s_clause 0x1
	global_load_u8 v5, v[1:2], off offset:4
	global_load_u8 v6, v[1:2], off offset:8
	s_wait_loadcnt 0x1
	v_and_b32_e32 v5, 63, v5
	s_wait_loadcnt 0x0
	v_and_b32_e32 v6, 63, v6
.LBB7_4:
	s_wait_alu 0xfffe
	s_or_b32 exec_lo, exec_lo, s6
	s_load_b32 s6, s[4:5], 0x0
                                        ; implicit-def: $vgpr8
                                        ; implicit-def: $vgpr7
	s_and_saveexec_b32 s7, vcc_lo
	s_wait_alu 0xfffe
	s_xor_b32 s7, exec_lo, s7
	s_cbranch_execz .LBB7_6
; %bb.5:
	s_clause 0x2
	global_load_u8 v7, v[1:2], off offset:1
	global_load_u8 v8, v[1:2], off offset:5
	;; [unrolled: 1-line block ×3, first 2 shown]
	s_wait_loadcnt 0x2
	v_lshrrev_b16 v7, 2, v7
	s_wait_loadcnt 0x1
	v_lshrrev_b16 v8, 2, v8
	s_wait_loadcnt 0x0
	v_and_b32_e32 v10, 15, v9
	v_lshrrev_b16 v9, 4, v9
	v_and_b32_e32 v7, 48, v7
	v_and_b32_e32 v8, 48, v8
	s_delay_alu instid0(VALU_DEP_2) | instskip(NEXT) | instid1(VALU_DEP_2)
	v_or_b32_e32 v7, v7, v10
	v_or_b32_e32 v8, v8, v9
.LBB7_6:
	s_wait_alu 0xfffe
	s_or_saveexec_b32 s7, s7
	s_load_b64 s[0:1], s[0:1], 0x8
	s_xor_b32 exec_lo, exec_lo, s7
	s_cbranch_execz .LBB7_8
; %bb.7:
	s_clause 0x1
	global_load_u8 v7, v[1:2], off offset:5
	global_load_u8 v8, v[1:2], off offset:9
	s_wait_loadcnt 0x1
	v_and_b32_e32 v7, 63, v7
	s_wait_loadcnt 0x0
	v_and_b32_e32 v8, 63, v8
.LBB7_8:
	s_or_b32 exec_lo, exec_lo, s7
	v_cvt_f32_ubyte0_e32 v6, v6
	v_lshlrev_b32_e32 v9, 1, v0
	v_mad_co_u64_u32 v[0:1], null, v4, 30, v[1:2]
	v_cvt_f32_ubyte0_e32 v7, v7
	v_cvt_f32_ubyte0_e32 v5, v5
	s_delay_alu instid0(VALU_DEP_4)
	v_and_b32_e32 v2, 30, v9
	v_lshlrev_b32_e64 v9, v3, 1
	v_lshlrev_b32_e64 v3, v3, 2
	v_cvt_f32_ubyte0_e32 v8, v8
	s_lshl_b64 s[2:3], s[2:3], 9
	v_add_co_u32 v0, vcc_lo, v0, v2
	s_delay_alu instid0(VALU_DEP_1)
	v_add_co_ci_u32_e64 v1, null, 0, v1, vcc_lo
	s_wait_kmcnt 0x0
	s_add_nc_u64 s[0:1], s[0:1], s[2:3]
	s_clause 0x1
	global_load_u16 v0, v[0:1], off offset:48
	global_load_u16 v1, v2, s[4:5] offset:16
	s_cvt_hi_f32_f16 s4, s6
	s_cvt_f32_f16 s5, s6
	v_lshlrev_b32_e32 v4, 7, v4
	s_wait_alu 0xfffe
	s_delay_alu instid0(SALU_CYCLE_1) | instskip(SKIP_1) | instid1(VALU_DEP_3)
	v_dual_mul_f32 v6, s4, v6 :: v_dual_mul_f32 v5, s5, v5
	v_mul_f32_e32 v7, s5, v7
	v_add_co_u32 v4, s0, s0, v4
	s_wait_alu 0xf1ff
	v_add_co_ci_u32_e64 v10, null, s1, 0, s0
	v_mul_f32_e32 v8, s4, v8
	s_wait_loadcnt 0x1
	v_lshrrev_b16 v14, 4, v0
	s_wait_loadcnt 0x0
	v_and_b32_e32 v12, 0xff, v1
	v_lshrrev_b16 v1, 8, v1
	v_lshrrev_b16 v11, 8, v0
	v_and_b32_e32 v13, 15, v0
	v_and_b32_e32 v14, 15, v14
	;; [unrolled: 1-line block ×6, first 2 shown]
	v_lshrrev_b16 v0, 12, v0
	v_cmp_eq_u32_e32 vcc_lo, 0, v15
	v_and_b32_e32 v9, v9, v1
	v_and_b32_e32 v1, v3, v1
	s_wait_alu 0xfffd
	v_cndmask_b32_e64 v15, 16, 0, vcc_lo
	v_cmp_eq_u32_e32 vcc_lo, 0, v12
	s_delay_alu instid0(VALU_DEP_2) | instskip(SKIP_3) | instid1(VALU_DEP_3)
	v_or_b32_e32 v3, v15, v13
	s_wait_alu 0xfffd
	v_cndmask_b32_e64 v12, 16, 0, vcc_lo
	v_cmp_eq_u32_e32 vcc_lo, 0, v9
	v_cvt_f32_ubyte0_e32 v3, v3
	s_delay_alu instid0(VALU_DEP_3) | instskip(SKIP_3) | instid1(VALU_DEP_2)
	v_or_b32_e32 v12, v12, v14
	s_wait_alu 0xfffd
	v_cndmask_b32_e64 v9, 16, 0, vcc_lo
	v_cmp_eq_u32_e32 vcc_lo, 0, v1
	v_or_b32_e32 v9, v9, v11
	s_wait_alu 0xfffd
	v_cndmask_b32_e64 v1, 16, 0, vcc_lo
	v_cvt_f32_ubyte0_e32 v11, v12
	s_delay_alu instid0(VALU_DEP_2)
	v_or_b32_e32 v0, v1, v0
	v_lshlrev_b32_e32 v1, 1, v2
	v_fma_mixlo_f16 v2, v5, v3, -v6
	v_cvt_f32_ubyte0_e32 v3, v9
	v_fma_mixlo_f16 v9, v7, v11, -v8
	v_cvt_f32_ubyte0_e32 v11, v0
	v_add_co_u32 v0, vcc_lo, v4, v1
	s_wait_alu 0xfffd
	v_add_co_ci_u32_e64 v1, null, 0, v10, vcc_lo
	v_fma_mixhi_f16 v2, v5, v3, -v6
	v_fma_mixhi_f16 v9, v7, v11, -v8
	s_clause 0x1
	global_store_b32 v[0:1], v2, off
	global_store_b32 v[0:1], v9, off offset:64
	s_endpgm
	.section	.rodata,"a",@progbits
	.p2align	6, 0x0
	.amdhsa_kernel _ZL21dequantize_block_q5_KI6__halfEvPKvPT_
		.amdhsa_group_segment_fixed_size 0
		.amdhsa_private_segment_fixed_size 0
		.amdhsa_kernarg_size 16
		.amdhsa_user_sgpr_count 2
		.amdhsa_user_sgpr_dispatch_ptr 0
		.amdhsa_user_sgpr_queue_ptr 0
		.amdhsa_user_sgpr_kernarg_segment_ptr 1
		.amdhsa_user_sgpr_dispatch_id 0
		.amdhsa_user_sgpr_private_segment_size 0
		.amdhsa_wavefront_size32 1
		.amdhsa_uses_dynamic_stack 0
		.amdhsa_enable_private_segment 0
		.amdhsa_system_sgpr_workgroup_id_x 1
		.amdhsa_system_sgpr_workgroup_id_y 0
		.amdhsa_system_sgpr_workgroup_id_z 0
		.amdhsa_system_sgpr_workgroup_info 0
		.amdhsa_system_vgpr_workitem_id 0
		.amdhsa_next_free_vgpr 16
		.amdhsa_next_free_sgpr 8
		.amdhsa_reserve_vcc 1
		.amdhsa_float_round_mode_32 0
		.amdhsa_float_round_mode_16_64 0
		.amdhsa_float_denorm_mode_32 3
		.amdhsa_float_denorm_mode_16_64 3
		.amdhsa_fp16_overflow 0
		.amdhsa_workgroup_processor_mode 1
		.amdhsa_memory_ordered 1
		.amdhsa_forward_progress 1
		.amdhsa_inst_pref_size 7
		.amdhsa_round_robin_scheduling 0
		.amdhsa_exception_fp_ieee_invalid_op 0
		.amdhsa_exception_fp_denorm_src 0
		.amdhsa_exception_fp_ieee_div_zero 0
		.amdhsa_exception_fp_ieee_overflow 0
		.amdhsa_exception_fp_ieee_underflow 0
		.amdhsa_exception_fp_ieee_inexact 0
		.amdhsa_exception_int_div_zero 0
	.end_amdhsa_kernel
	.section	.text._ZL21dequantize_block_q5_KI6__halfEvPKvPT_,"axG",@progbits,_ZL21dequantize_block_q5_KI6__halfEvPKvPT_,comdat
.Lfunc_end7:
	.size	_ZL21dequantize_block_q5_KI6__halfEvPKvPT_, .Lfunc_end7-_ZL21dequantize_block_q5_KI6__halfEvPKvPT_
                                        ; -- End function
	.set _ZL21dequantize_block_q5_KI6__halfEvPKvPT_.num_vgpr, 16
	.set _ZL21dequantize_block_q5_KI6__halfEvPKvPT_.num_agpr, 0
	.set _ZL21dequantize_block_q5_KI6__halfEvPKvPT_.numbered_sgpr, 8
	.set _ZL21dequantize_block_q5_KI6__halfEvPKvPT_.num_named_barrier, 0
	.set _ZL21dequantize_block_q5_KI6__halfEvPKvPT_.private_seg_size, 0
	.set _ZL21dequantize_block_q5_KI6__halfEvPKvPT_.uses_vcc, 1
	.set _ZL21dequantize_block_q5_KI6__halfEvPKvPT_.uses_flat_scratch, 0
	.set _ZL21dequantize_block_q5_KI6__halfEvPKvPT_.has_dyn_sized_stack, 0
	.set _ZL21dequantize_block_q5_KI6__halfEvPKvPT_.has_recursion, 0
	.set _ZL21dequantize_block_q5_KI6__halfEvPKvPT_.has_indirect_call, 0
	.section	.AMDGPU.csdata,"",@progbits
; Kernel info:
; codeLenInByte = 892
; TotalNumSgprs: 10
; NumVgprs: 16
; ScratchSize: 0
; MemoryBound: 0
; FloatMode: 240
; IeeeMode: 1
; LDSByteSize: 0 bytes/workgroup (compile time only)
; SGPRBlocks: 0
; VGPRBlocks: 1
; NumSGPRsForWavesPerEU: 10
; NumVGPRsForWavesPerEU: 16
; Occupancy: 16
; WaveLimiterHint : 0
; COMPUTE_PGM_RSRC2:SCRATCH_EN: 0
; COMPUTE_PGM_RSRC2:USER_SGPR: 2
; COMPUTE_PGM_RSRC2:TRAP_HANDLER: 0
; COMPUTE_PGM_RSRC2:TGID_X_EN: 1
; COMPUTE_PGM_RSRC2:TGID_Y_EN: 0
; COMPUTE_PGM_RSRC2:TGID_Z_EN: 0
; COMPUTE_PGM_RSRC2:TIDIG_COMP_CNT: 0
	.section	.text._ZL21dequantize_block_q6_KI6__halfEvPKvPT_,"axG",@progbits,_ZL21dequantize_block_q6_KI6__halfEvPKvPT_,comdat
	.globl	_ZL21dequantize_block_q6_KI6__halfEvPKvPT_ ; -- Begin function _ZL21dequantize_block_q6_KI6__halfEvPKvPT_
	.p2align	8
	.type	_ZL21dequantize_block_q6_KI6__halfEvPKvPT_,@function
_ZL21dequantize_block_q6_KI6__halfEvPKvPT_: ; @_ZL21dequantize_block_q6_KI6__halfEvPKvPT_
; %bb.0:
	s_load_b128 s[0:3], s[0:1], 0x0
	s_mov_b32 s4, ttmp9
	s_mov_b32 s5, 0
	v_mov_b32_e32 v1, 0
	s_mul_u64 s[6:7], s[4:5], 0xd2
	v_lshrrev_b32_e32 v4, 5, v0
	v_bfe_u32 v2, v0, 4, 1
	s_delay_alu instid0(VALU_DEP_2)
	v_lshlrev_b32_e32 v3, 6, v4
	v_mul_i32_i24_e32 v7, 0xffffffc8, v4
	v_mul_hi_i32_i24_e32 v6, 0xffffffc8, v4
	s_wait_kmcnt 0x0
	s_add_nc_u64 s[0:1], s[0:1], s[6:7]
	s_clause 0x1
	global_load_u16 v9, v1, s[0:1] offset:208
	global_load_u8 v10, v0, s[0:1] offset:128
	v_add_co_u32 v3, s6, s0, v3
	s_delay_alu instid0(VALU_DEP_1) | instskip(SKIP_2) | instid1(VALU_DEP_1)
	v_add_co_ci_u32_e64 v8, null, s1, 0, s6
	s_lshl_b64 s[0:1], s[4:5], 9
	v_add_co_u32 v7, vcc_lo, v3, v7
	v_add_co_ci_u32_e64 v6, null, v8, v6, vcc_lo
	s_wait_alu 0xfffe
	s_add_nc_u64 s[0:1], s[2:3], s[0:1]
	s_wait_loadcnt 0x1
	v_cvt_f32_f16_e32 v9, v9
	v_and_b32_e32 v5, 31, v0
	s_wait_loadcnt 0x0
	v_lshlrev_b16 v12, 2, v10
	v_lshrrev_b16 v13, 2, v10
	s_delay_alu instid0(VALU_DEP_3)
	v_add_co_u32 v0, vcc_lo, v3, v5
	s_wait_alu 0xfffd
	v_add_co_ci_u32_e64 v1, null, 0, v8, vcc_lo
	v_add_co_u32 v2, vcc_lo, v7, v2
	s_wait_alu 0xfffd
	v_add_co_ci_u32_e64 v3, null, 0, v6, vcc_lo
	s_clause 0x5
	global_load_u8 v6, v[0:1], off
	global_load_i8 v7, v[2:3], off offset:192
	global_load_i8 v8, v[2:3], off offset:194
	;; [unrolled: 1-line block ×4, first 2 shown]
	global_load_u8 v0, v[0:1], off offset:32
	v_and_b32_e32 v13, 48, v13
	v_lshlrev_b32_e32 v1, 8, v4
	s_wait_alu 0xfffe
	s_delay_alu instid0(VALU_DEP_1)
	v_add_co_u32 v1, s0, s0, v1
	s_wait_alu 0xf1ff
	v_add_co_ci_u32_e64 v4, null, s1, 0, s0
	s_wait_loadcnt 0x4
	v_cvt_f32_i32_e32 v7, v7
	s_wait_loadcnt 0x3
	v_cvt_f32_i32_e32 v8, v8
	v_and_b32_e32 v14, 15, v6
	s_wait_loadcnt 0x1
	v_cvt_f32_i32_e32 v2, v2
	v_lshrrev_b16 v6, 4, v6
	v_cvt_f32_i32_e32 v11, v11
	v_dual_mul_f32 v7, v9, v7 :: v_dual_and_b32 v12, 48, v12
	s_delay_alu instid0(VALU_DEP_4) | instskip(SKIP_3) | instid1(VALU_DEP_2)
	v_dual_mul_f32 v2, v9, v2 :: v_dual_lshlrev_b32 v3, 1, v5
	v_mul_f32_e32 v8, v9, v8
	v_lshlrev_b16 v5, 4, v10
	v_dual_mul_f32 v11, v9, v11 :: v_dual_and_b32 v10, 48, v10
	v_and_b32_e32 v5, 48, v5
	s_delay_alu instid0(VALU_DEP_2) | instskip(NEXT) | instid1(VALU_DEP_2)
	v_or_b32_e32 v6, v6, v10
	v_or_b32_e32 v5, v14, v5
	s_wait_loadcnt 0x0
	v_and_b32_e32 v14, 15, v0
	v_lshrrev_b16 v0, 4, v0
	v_and_b32_e32 v6, 0xffff, v6
	v_and_b32_e32 v5, 0xffff, v5
	s_delay_alu instid0(VALU_DEP_4) | instskip(NEXT) | instid1(VALU_DEP_4)
	v_or_b32_e32 v10, v14, v12
	v_or_b32_e32 v0, v0, v13
	s_delay_alu instid0(VALU_DEP_4) | instskip(NEXT) | instid1(VALU_DEP_4)
	v_subrev_nc_u32_e32 v6, 32, v6
	v_subrev_nc_u32_e32 v5, 32, v5
	s_delay_alu instid0(VALU_DEP_4) | instskip(NEXT) | instid1(VALU_DEP_4)
	v_and_b32_e32 v10, 0xffff, v10
	v_and_b32_e32 v0, 0xffff, v0
	s_delay_alu instid0(VALU_DEP_4) | instskip(NEXT) | instid1(VALU_DEP_4)
	v_cvt_f32_i32_e32 v6, v6
	v_cvt_f32_i32_e32 v5, v5
	s_delay_alu instid0(VALU_DEP_4) | instskip(NEXT) | instid1(VALU_DEP_4)
	v_subrev_nc_u32_e32 v10, 32, v10
	v_subrev_nc_u32_e32 v0, 32, v0
	s_delay_alu instid0(VALU_DEP_2) | instskip(NEXT) | instid1(VALU_DEP_2)
	v_cvt_f32_i32_e32 v9, v10
	v_cvt_f32_i32_e32 v10, v0
	v_add_co_u32 v0, vcc_lo, v1, v3
	s_wait_alu 0xfffd
	v_add_co_ci_u32_e64 v1, null, 0, v4, vcc_lo
	v_fma_mixlo_f16 v3, v7, v5, 0
	v_fma_mixlo_f16 v4, v8, v9, 0
	;; [unrolled: 1-line block ×4, first 2 shown]
	s_clause 0x3
	global_store_b16 v[0:1], v3, off
	global_store_b16 v[0:1], v4, off offset:64
	global_store_b16 v[0:1], v5, off offset:128
	;; [unrolled: 1-line block ×3, first 2 shown]
	s_endpgm
	.section	.rodata,"a",@progbits
	.p2align	6, 0x0
	.amdhsa_kernel _ZL21dequantize_block_q6_KI6__halfEvPKvPT_
		.amdhsa_group_segment_fixed_size 0
		.amdhsa_private_segment_fixed_size 0
		.amdhsa_kernarg_size 16
		.amdhsa_user_sgpr_count 2
		.amdhsa_user_sgpr_dispatch_ptr 0
		.amdhsa_user_sgpr_queue_ptr 0
		.amdhsa_user_sgpr_kernarg_segment_ptr 1
		.amdhsa_user_sgpr_dispatch_id 0
		.amdhsa_user_sgpr_private_segment_size 0
		.amdhsa_wavefront_size32 1
		.amdhsa_uses_dynamic_stack 0
		.amdhsa_enable_private_segment 0
		.amdhsa_system_sgpr_workgroup_id_x 1
		.amdhsa_system_sgpr_workgroup_id_y 0
		.amdhsa_system_sgpr_workgroup_id_z 0
		.amdhsa_system_sgpr_workgroup_info 0
		.amdhsa_system_vgpr_workitem_id 0
		.amdhsa_next_free_vgpr 15
		.amdhsa_next_free_sgpr 8
		.amdhsa_reserve_vcc 1
		.amdhsa_float_round_mode_32 0
		.amdhsa_float_round_mode_16_64 0
		.amdhsa_float_denorm_mode_32 3
		.amdhsa_float_denorm_mode_16_64 3
		.amdhsa_fp16_overflow 0
		.amdhsa_workgroup_processor_mode 1
		.amdhsa_memory_ordered 1
		.amdhsa_forward_progress 1
		.amdhsa_inst_pref_size 6
		.amdhsa_round_robin_scheduling 0
		.amdhsa_exception_fp_ieee_invalid_op 0
		.amdhsa_exception_fp_denorm_src 0
		.amdhsa_exception_fp_ieee_div_zero 0
		.amdhsa_exception_fp_ieee_overflow 0
		.amdhsa_exception_fp_ieee_underflow 0
		.amdhsa_exception_fp_ieee_inexact 0
		.amdhsa_exception_int_div_zero 0
	.end_amdhsa_kernel
	.section	.text._ZL21dequantize_block_q6_KI6__halfEvPKvPT_,"axG",@progbits,_ZL21dequantize_block_q6_KI6__halfEvPKvPT_,comdat
.Lfunc_end8:
	.size	_ZL21dequantize_block_q6_KI6__halfEvPKvPT_, .Lfunc_end8-_ZL21dequantize_block_q6_KI6__halfEvPKvPT_
                                        ; -- End function
	.set _ZL21dequantize_block_q6_KI6__halfEvPKvPT_.num_vgpr, 15
	.set _ZL21dequantize_block_q6_KI6__halfEvPKvPT_.num_agpr, 0
	.set _ZL21dequantize_block_q6_KI6__halfEvPKvPT_.numbered_sgpr, 8
	.set _ZL21dequantize_block_q6_KI6__halfEvPKvPT_.num_named_barrier, 0
	.set _ZL21dequantize_block_q6_KI6__halfEvPKvPT_.private_seg_size, 0
	.set _ZL21dequantize_block_q6_KI6__halfEvPKvPT_.uses_vcc, 1
	.set _ZL21dequantize_block_q6_KI6__halfEvPKvPT_.uses_flat_scratch, 0
	.set _ZL21dequantize_block_q6_KI6__halfEvPKvPT_.has_dyn_sized_stack, 0
	.set _ZL21dequantize_block_q6_KI6__halfEvPKvPT_.has_recursion, 0
	.set _ZL21dequantize_block_q6_KI6__halfEvPKvPT_.has_indirect_call, 0
	.section	.AMDGPU.csdata,"",@progbits
; Kernel info:
; codeLenInByte = 652
; TotalNumSgprs: 10
; NumVgprs: 15
; ScratchSize: 0
; MemoryBound: 0
; FloatMode: 240
; IeeeMode: 1
; LDSByteSize: 0 bytes/workgroup (compile time only)
; SGPRBlocks: 0
; VGPRBlocks: 1
; NumSGPRsForWavesPerEU: 10
; NumVGPRsForWavesPerEU: 15
; Occupancy: 16
; WaveLimiterHint : 0
; COMPUTE_PGM_RSRC2:SCRATCH_EN: 0
; COMPUTE_PGM_RSRC2:USER_SGPR: 2
; COMPUTE_PGM_RSRC2:TRAP_HANDLER: 0
; COMPUTE_PGM_RSRC2:TGID_X_EN: 1
; COMPUTE_PGM_RSRC2:TGID_Y_EN: 0
; COMPUTE_PGM_RSRC2:TGID_Z_EN: 0
; COMPUTE_PGM_RSRC2:TIDIG_COMP_CNT: 0
	.section	.text._ZL24dequantize_block_iq2_xxsI6__halfEvPKvPT_,"axG",@progbits,_ZL24dequantize_block_iq2_xxsI6__halfEvPKvPT_,comdat
	.globl	_ZL24dequantize_block_iq2_xxsI6__halfEvPKvPT_ ; -- Begin function _ZL24dequantize_block_iq2_xxsI6__halfEvPKvPT_
	.p2align	8
	.type	_ZL24dequantize_block_iq2_xxsI6__halfEvPKvPT_,@function
_ZL24dequantize_block_iq2_xxsI6__halfEvPKvPT_: ; @_ZL24dequantize_block_iq2_xxsI6__halfEvPKvPT_
; %bb.0:
	s_load_b128 s[0:3], s[0:1], 0x0
	v_dual_mov_b32 v6, 0 :: v_dual_and_b32 v3, 7, v0
	s_mov_b32 s4, ttmp9
	s_mov_b32 s5, 0
	v_lshrrev_b32_e32 v5, 3, v0
	s_delay_alu instid0(VALU_DEP_2)
	v_lshlrev_b32_e32 v4, 3, v3
	s_mul_u64 s[6:7], s[4:5], 0x42
	s_wait_kmcnt 0x0
	s_add_nc_u64 s[0:1], s[0:1], s[6:7]
	s_delay_alu instid0(VALU_DEP_1) | instid1(SALU_CYCLE_1)
	v_add_co_u32 v1, s6, s0, v4
	s_delay_alu instid0(VALU_DEP_1) | instskip(NEXT) | instid1(VALU_DEP_2)
	v_add_co_ci_u32_e64 v2, null, s1, 0, s6
	v_add_co_u32 v1, vcc_lo, v1, v5
	s_delay_alu instid0(VALU_DEP_1)
	v_add_co_ci_u32_e64 v2, null, 0, v2, vcc_lo
	s_clause 0x2
	global_load_u8 v1, v[1:2], off offset:2
	global_load_u16 v6, v6, s[0:1]
	global_load_b32 v4, v4, s[0:1] offset:6
	v_mul_u32_u24_e32 v2, 7, v5
	s_getpc_b64 s[0:1]
	s_wait_alu 0xfffe
	s_sext_i32_i16 s1, s1
	s_add_co_u32 s0, s0, _ZL11iq2xxs_grid@rel32@lo+12
	s_wait_alu 0xfffe
	s_add_co_ci_u32 s1, s1, _ZL11iq2xxs_grid@rel32@hi+24
	s_getpc_b64 s[6:7]
	s_wait_alu 0xfffe
	s_sext_i32_i16 s7, s7
	s_add_co_u32 s6, s6, _ZL12ksigns_iq2xs@rel32@lo+12
	s_wait_alu 0xfffe
	s_add_co_ci_u32 s7, s7, _ZL12ksigns_iq2xs@rel32@hi+24
	s_wait_loadcnt 0x1
	v_cvt_f32_f16_e32 v6, v6
	s_wait_loadcnt 0x0
	v_bfe_u32 v5, v4, v2, 7
	v_lshrrev_b32_e32 v4, 28, v4
	s_delay_alu instid0(VALU_DEP_1) | instskip(NEXT) | instid1(VALU_DEP_1)
	v_cvt_f32_ubyte0_e32 v4, v4
	v_dual_add_f32 v4, 0.5, v4 :: v_dual_lshlrev_b32 v1, 3, v1
	global_load_b64 v[1:2], v1, s[0:1]
	global_load_i8 v7, v5, s[6:7]
	v_lshlrev_b32_e32 v3, 6, v3
	s_lshl_b64 s[0:1], s[4:5], 9
	v_mul_f32_e32 v4, v4, v6
	s_wait_alu 0xfffe
	s_add_nc_u64 s[0:1], s[2:3], s[0:1]
	s_wait_alu 0xfffe
	v_add_co_u32 v3, s0, s0, v3
	v_mul_f32_e32 v4, 0x3e800000, v4
	s_wait_alu 0xf1ff
	v_add_co_ci_u32_e64 v6, null, s1, 0, s0
	s_wait_loadcnt 0x1
	v_cvt_f32_ubyte0_e32 v8, v1
	s_wait_loadcnt 0x0
	v_and_b32_e32 v9, 1, v7
	v_cvt_f32_ubyte1_e32 v10, v1
	v_and_b32_e32 v11, 2, v7
	v_cvt_f32_ubyte2_e32 v12, v1
	v_cvt_f32_ubyte3_e32 v1, v1
	v_and_b32_e32 v0, 0x3f8, v0
	v_cvt_f32_ubyte0_e32 v15, v2
	v_cvt_f32_ubyte1_e32 v17, v2
	v_cvt_f32_ubyte2_e32 v19, v2
	v_cvt_f32_ubyte3_e32 v2, v2
	v_mul_f32_e32 v8, v4, v8
	v_cmp_eq_u16_e32 vcc_lo, 0, v9
	v_dual_mul_f32 v10, v4, v10 :: v_dual_and_b32 v13, 4, v7
	v_dual_mul_f32 v17, v4, v17 :: v_dual_and_b32 v14, 8, v7
	v_mul_f32_e32 v12, v4, v12
	v_dual_mul_f32 v1, v4, v1 :: v_dual_lshlrev_b32 v0, 1, v0
	v_mul_f32_e32 v15, v4, v15
	v_mul_f32_e32 v19, v4, v19
	;; [unrolled: 1-line block ×3, first 2 shown]
	s_wait_alu 0xfffd
	v_cndmask_b32_e64 v4, -v8, v8, vcc_lo
	v_cmp_eq_u16_e32 vcc_lo, 0, v11
	v_and_b32_e32 v16, 16, v7
	v_and_b32_e32 v18, 32, v7
	s_wait_alu 0xfffd
	v_cndmask_b32_e64 v8, -v10, v10, vcc_lo
	v_cmp_eq_u16_e32 vcc_lo, 0, v13
	s_delay_alu instid0(VALU_DEP_2) | instskip(SKIP_3) | instid1(VALU_DEP_2)
	v_cvt_f16_f32_e32 v8, v8
	s_wait_alu 0xfffd
	v_cndmask_b32_e64 v9, -v12, v12, vcc_lo
	v_cmp_eq_u16_e32 vcc_lo, 0, v14
	v_cvt_f16_f32_e32 v9, v9
	s_wait_alu 0xfffd
	v_cndmask_b32_e64 v1, -v1, v1, vcc_lo
	v_cmp_eq_u16_e32 vcc_lo, 0, v16
	s_delay_alu instid0(VALU_DEP_2) | instskip(SKIP_3) | instid1(VALU_DEP_3)
	v_cvt_f16_f32_e32 v1, v1
	s_wait_alu 0xfffd
	v_cndmask_b32_e64 v10, -v15, v15, vcc_lo
	v_cmp_eq_u16_e32 vcc_lo, 0, v18
	v_pack_b32_f16 v1, v9, v1
	s_delay_alu instid0(VALU_DEP_3) | instskip(SKIP_3) | instid1(VALU_DEP_2)
	v_cvt_f16_f32_e32 v10, v10
	s_wait_alu 0xfffd
	v_cndmask_b32_e64 v11, -v17, v17, vcc_lo
	v_cmp_gt_u32_e32 vcc_lo, 64, v5
	v_cvt_f16_f32_e32 v11, v11
	s_wait_alu 0xfffd
	v_cndmask_b32_e64 v5, -v19, v19, vcc_lo
	v_cmp_gt_i16_e32 vcc_lo, 0, v7
	v_cvt_f16_f32_e32 v7, v4
	s_delay_alu instid0(VALU_DEP_3)
	v_cvt_f16_f32_e32 v12, v5
	s_wait_alu 0xfffd
	v_cndmask_b32_e64 v2, v2, -v2, vcc_lo
	v_add_co_u32 v4, vcc_lo, v3, v0
	s_wait_alu 0xfffd
	v_add_co_ci_u32_e64 v5, null, 0, v6, vcc_lo
	s_delay_alu instid0(VALU_DEP_3) | instskip(SKIP_1) | instid1(VALU_DEP_2)
	v_cvt_f16_f32_e32 v2, v2
	v_pack_b32_f16 v0, v7, v8
	v_pack_b32_f16 v3, v12, v2
	;; [unrolled: 1-line block ×3, first 2 shown]
	global_store_b128 v[4:5], v[0:3], off
	s_endpgm
	.section	.rodata,"a",@progbits
	.p2align	6, 0x0
	.amdhsa_kernel _ZL24dequantize_block_iq2_xxsI6__halfEvPKvPT_
		.amdhsa_group_segment_fixed_size 0
		.amdhsa_private_segment_fixed_size 0
		.amdhsa_kernarg_size 16
		.amdhsa_user_sgpr_count 2
		.amdhsa_user_sgpr_dispatch_ptr 0
		.amdhsa_user_sgpr_queue_ptr 0
		.amdhsa_user_sgpr_kernarg_segment_ptr 1
		.amdhsa_user_sgpr_dispatch_id 0
		.amdhsa_user_sgpr_private_segment_size 0
		.amdhsa_wavefront_size32 1
		.amdhsa_uses_dynamic_stack 0
		.amdhsa_enable_private_segment 0
		.amdhsa_system_sgpr_workgroup_id_x 1
		.amdhsa_system_sgpr_workgroup_id_y 0
		.amdhsa_system_sgpr_workgroup_id_z 0
		.amdhsa_system_sgpr_workgroup_info 0
		.amdhsa_system_vgpr_workitem_id 0
		.amdhsa_next_free_vgpr 20
		.amdhsa_next_free_sgpr 8
		.amdhsa_reserve_vcc 1
		.amdhsa_float_round_mode_32 0
		.amdhsa_float_round_mode_16_64 0
		.amdhsa_float_denorm_mode_32 3
		.amdhsa_float_denorm_mode_16_64 3
		.amdhsa_fp16_overflow 0
		.amdhsa_workgroup_processor_mode 1
		.amdhsa_memory_ordered 1
		.amdhsa_forward_progress 1
		.amdhsa_inst_pref_size 6
		.amdhsa_round_robin_scheduling 0
		.amdhsa_exception_fp_ieee_invalid_op 0
		.amdhsa_exception_fp_denorm_src 0
		.amdhsa_exception_fp_ieee_div_zero 0
		.amdhsa_exception_fp_ieee_overflow 0
		.amdhsa_exception_fp_ieee_underflow 0
		.amdhsa_exception_fp_ieee_inexact 0
		.amdhsa_exception_int_div_zero 0
	.end_amdhsa_kernel
	.section	.text._ZL24dequantize_block_iq2_xxsI6__halfEvPKvPT_,"axG",@progbits,_ZL24dequantize_block_iq2_xxsI6__halfEvPKvPT_,comdat
.Lfunc_end9:
	.size	_ZL24dequantize_block_iq2_xxsI6__halfEvPKvPT_, .Lfunc_end9-_ZL24dequantize_block_iq2_xxsI6__halfEvPKvPT_
                                        ; -- End function
	.set _ZL24dequantize_block_iq2_xxsI6__halfEvPKvPT_.num_vgpr, 20
	.set _ZL24dequantize_block_iq2_xxsI6__halfEvPKvPT_.num_agpr, 0
	.set _ZL24dequantize_block_iq2_xxsI6__halfEvPKvPT_.numbered_sgpr, 8
	.set _ZL24dequantize_block_iq2_xxsI6__halfEvPKvPT_.num_named_barrier, 0
	.set _ZL24dequantize_block_iq2_xxsI6__halfEvPKvPT_.private_seg_size, 0
	.set _ZL24dequantize_block_iq2_xxsI6__halfEvPKvPT_.uses_vcc, 1
	.set _ZL24dequantize_block_iq2_xxsI6__halfEvPKvPT_.uses_flat_scratch, 0
	.set _ZL24dequantize_block_iq2_xxsI6__halfEvPKvPT_.has_dyn_sized_stack, 0
	.set _ZL24dequantize_block_iq2_xxsI6__halfEvPKvPT_.has_recursion, 0
	.set _ZL24dequantize_block_iq2_xxsI6__halfEvPKvPT_.has_indirect_call, 0
	.section	.AMDGPU.csdata,"",@progbits
; Kernel info:
; codeLenInByte = 676
; TotalNumSgprs: 10
; NumVgprs: 20
; ScratchSize: 0
; MemoryBound: 0
; FloatMode: 240
; IeeeMode: 1
; LDSByteSize: 0 bytes/workgroup (compile time only)
; SGPRBlocks: 0
; VGPRBlocks: 2
; NumSGPRsForWavesPerEU: 10
; NumVGPRsForWavesPerEU: 20
; Occupancy: 16
; WaveLimiterHint : 0
; COMPUTE_PGM_RSRC2:SCRATCH_EN: 0
; COMPUTE_PGM_RSRC2:USER_SGPR: 2
; COMPUTE_PGM_RSRC2:TRAP_HANDLER: 0
; COMPUTE_PGM_RSRC2:TGID_X_EN: 1
; COMPUTE_PGM_RSRC2:TGID_Y_EN: 0
; COMPUTE_PGM_RSRC2:TGID_Z_EN: 0
; COMPUTE_PGM_RSRC2:TIDIG_COMP_CNT: 0
	.section	.text._ZL23dequantize_block_iq2_xsI6__halfEvPKvPT_,"axG",@progbits,_ZL23dequantize_block_iq2_xsI6__halfEvPKvPT_,comdat
	.globl	_ZL23dequantize_block_iq2_xsI6__halfEvPKvPT_ ; -- Begin function _ZL23dequantize_block_iq2_xsI6__halfEvPKvPT_
	.p2align	8
	.type	_ZL23dequantize_block_iq2_xsI6__halfEvPKvPT_,@function
_ZL23dequantize_block_iq2_xsI6__halfEvPKvPT_: ; @_ZL23dequantize_block_iq2_xsI6__halfEvPKvPT_
; %bb.0:
	s_load_b128 s[0:3], s[0:1], 0x0
	v_and_b32_e32 v3, 7, v0
	s_mov_b32 s4, ttmp9
	s_mov_b32 s5, 0
	v_lshrrev_b32_e32 v4, 2, v0
	s_mul_u64 s[6:7], s[4:5], 0x4a
	v_lshlrev_b32_e32 v1, 3, v3
	s_delay_alu instid0(VALU_DEP_2) | instskip(SKIP_3) | instid1(SALU_CYCLE_1)
	v_and_b32_e32 v2, 0xfe, v4
	v_and_b32_e32 v4, 0xfc, v4
	s_wait_kmcnt 0x0
	s_add_nc_u64 s[0:1], s[0:1], s[6:7]
	v_add_co_u32 v1, s6, s0, v1
	s_delay_alu instid0(VALU_DEP_1) | instskip(NEXT) | instid1(VALU_DEP_2)
	v_add_co_ci_u32_e64 v5, null, s1, 0, s6
	v_add_co_u32 v1, vcc_lo, v1, v2
	s_delay_alu instid0(VALU_DEP_1)
	v_add_co_ci_u32_e64 v2, null, 0, v5, vcc_lo
	global_load_u16 v5, v[1:2], off offset:2
	v_mov_b32_e32 v1, 0
	s_clause 0x1
	global_load_u16 v6, v1, s[0:1]
	global_load_u8 v7, v3, s[0:1] offset:66
	s_getpc_b64 s[0:1]
	s_wait_alu 0xfffe
	s_sext_i32_i16 s1, s1
	s_add_co_u32 s0, s0, _ZL12ksigns_iq2xs@rel32@lo+12
	s_wait_alu 0xfffe
	s_add_co_ci_u32 s1, s1, _ZL12ksigns_iq2xs@rel32@hi+24
	s_getpc_b64 s[6:7]
	s_wait_alu 0xfffe
	s_sext_i32_i16 s7, s7
	s_add_co_u32 s6, s6, _ZL10iq2xs_grid@rel32@lo+12
	s_wait_alu 0xfffe
	s_add_co_ci_u32 s7, s7, _ZL10iq2xs_grid@rel32@hi+24
	s_wait_loadcnt 0x1
	v_cvt_f32_f16_e32 v6, v6
	s_wait_loadcnt 0x0
	v_bfe_u32 v4, v7, v4, 4
	s_delay_alu instid0(VALU_DEP_1) | instskip(NEXT) | instid1(VALU_DEP_1)
	v_cvt_f32_ubyte0_e32 v4, v4
	v_add_f32_e32 v4, 0.5, v4
	s_delay_alu instid0(VALU_DEP_1) | instskip(NEXT) | instid1(VALU_DEP_1)
	v_dual_mul_f32 v4, v4, v6 :: v_dual_lshlrev_b32 v3, 6, v3
	v_mul_f32_e32 v4, 0x3e800000, v4
	v_and_b32_e32 v1, 0xffff, v5
	v_and_b32_e32 v2, 0x1ff, v5
	s_delay_alu instid0(VALU_DEP_2) | instskip(NEXT) | instid1(VALU_DEP_2)
	v_lshrrev_b32_e32 v1, 9, v1
	v_and_b32_e32 v2, 0xffff, v2
	global_load_i8 v8, v1, s[0:1]
	v_lshlrev_b32_e32 v1, 3, v2
	s_lshl_b64 s[0:1], s[4:5], 9
	s_wait_alu 0xfffe
	s_add_nc_u64 s[0:1], s[2:3], s[0:1]
	global_load_b64 v[1:2], v1, s[6:7]
	s_wait_alu 0xfffe
	v_add_co_u32 v3, s0, s0, v3
	s_wait_alu 0xf1ff
	v_add_co_ci_u32_e64 v6, null, s1, 0, s0
	s_wait_loadcnt 0x1
	v_and_b32_e32 v10, 4, v8
	v_and_b32_e32 v11, 8, v8
	;; [unrolled: 1-line block ×4, first 2 shown]
	s_wait_loadcnt 0x0
	v_cvt_f32_ubyte0_e32 v14, v1
	v_cvt_f32_ubyte1_e32 v18, v2
	v_and_b32_e32 v7, 1, v8
	v_cvt_f32_ubyte1_e32 v15, v1
	v_cvt_f32_ubyte2_e32 v16, v1
	v_cvt_f32_ubyte3_e32 v1, v1
	v_cvt_f32_ubyte0_e32 v17, v2
	v_and_b32_e32 v0, 0x3f8, v0
	v_cvt_f32_ubyte2_e32 v19, v2
	v_cvt_f32_ubyte3_e32 v2, v2
	v_dual_mul_f32 v14, v4, v14 :: v_dual_and_b32 v9, 2, v8
	v_mul_f32_e32 v18, v4, v18
	v_cmp_eq_u16_e32 vcc_lo, 0, v7
	v_mul_f32_e32 v15, v4, v15
	v_mul_f32_e32 v16, v4, v16
	;; [unrolled: 1-line block ×3, first 2 shown]
	v_dual_mul_f32 v17, v4, v17 :: v_dual_lshlrev_b32 v0, 1, v0
	v_mul_f32_e32 v19, v4, v19
	v_mul_f32_e32 v2, v4, v2
	s_wait_alu 0xfffd
	v_cndmask_b32_e64 v4, -v14, v14, vcc_lo
	v_cmp_eq_u16_e32 vcc_lo, 0, v9
	s_wait_alu 0xfffd
	v_cndmask_b32_e64 v7, -v15, v15, vcc_lo
	v_cmp_eq_u16_e32 vcc_lo, 0, v10
	s_delay_alu instid0(VALU_DEP_2) | instskip(SKIP_3) | instid1(VALU_DEP_2)
	v_cvt_f16_f32_e32 v7, v7
	s_wait_alu 0xfffd
	v_cndmask_b32_e64 v9, -v16, v16, vcc_lo
	v_cmp_eq_u16_e32 vcc_lo, 0, v11
	v_cvt_f16_f32_e32 v9, v9
	s_wait_alu 0xfffd
	v_cndmask_b32_e64 v1, -v1, v1, vcc_lo
	v_cmp_eq_u16_e32 vcc_lo, 0, v12
	s_delay_alu instid0(VALU_DEP_2) | instskip(SKIP_3) | instid1(VALU_DEP_3)
	v_cvt_f16_f32_e32 v1, v1
	s_wait_alu 0xfffd
	v_cndmask_b32_e64 v10, -v17, v17, vcc_lo
	v_cmp_eq_u16_e32 vcc_lo, 0, v13
	v_pack_b32_f16 v1, v9, v1
	s_delay_alu instid0(VALU_DEP_3) | instskip(SKIP_3) | instid1(VALU_DEP_2)
	v_cvt_f16_f32_e32 v10, v10
	s_wait_alu 0xfffd
	v_cndmask_b32_e64 v11, -v18, v18, vcc_lo
	v_cmp_gt_i16_e32 vcc_lo, 0, v5
	v_cvt_f16_f32_e32 v11, v11
	s_wait_alu 0xfffd
	v_cndmask_b32_e64 v5, v19, -v19, vcc_lo
	v_cmp_gt_i16_e32 vcc_lo, 0, v8
	v_cvt_f16_f32_e32 v8, v4
	s_delay_alu instid0(VALU_DEP_3)
	v_cvt_f16_f32_e32 v12, v5
	s_wait_alu 0xfffd
	v_cndmask_b32_e64 v2, v2, -v2, vcc_lo
	v_add_co_u32 v4, vcc_lo, v3, v0
	s_wait_alu 0xfffd
	v_add_co_ci_u32_e64 v5, null, 0, v6, vcc_lo
	s_delay_alu instid0(VALU_DEP_3) | instskip(SKIP_1) | instid1(VALU_DEP_2)
	v_cvt_f16_f32_e32 v2, v2
	v_pack_b32_f16 v0, v8, v7
	v_pack_b32_f16 v3, v12, v2
	;; [unrolled: 1-line block ×3, first 2 shown]
	global_store_b128 v[4:5], v[0:3], off
	s_endpgm
	.section	.rodata,"a",@progbits
	.p2align	6, 0x0
	.amdhsa_kernel _ZL23dequantize_block_iq2_xsI6__halfEvPKvPT_
		.amdhsa_group_segment_fixed_size 0
		.amdhsa_private_segment_fixed_size 0
		.amdhsa_kernarg_size 16
		.amdhsa_user_sgpr_count 2
		.amdhsa_user_sgpr_dispatch_ptr 0
		.amdhsa_user_sgpr_queue_ptr 0
		.amdhsa_user_sgpr_kernarg_segment_ptr 1
		.amdhsa_user_sgpr_dispatch_id 0
		.amdhsa_user_sgpr_private_segment_size 0
		.amdhsa_wavefront_size32 1
		.amdhsa_uses_dynamic_stack 0
		.amdhsa_enable_private_segment 0
		.amdhsa_system_sgpr_workgroup_id_x 1
		.amdhsa_system_sgpr_workgroup_id_y 0
		.amdhsa_system_sgpr_workgroup_id_z 0
		.amdhsa_system_sgpr_workgroup_info 0
		.amdhsa_system_vgpr_workitem_id 0
		.amdhsa_next_free_vgpr 20
		.amdhsa_next_free_sgpr 8
		.amdhsa_reserve_vcc 1
		.amdhsa_float_round_mode_32 0
		.amdhsa_float_round_mode_16_64 0
		.amdhsa_float_denorm_mode_32 3
		.amdhsa_float_denorm_mode_16_64 3
		.amdhsa_fp16_overflow 0
		.amdhsa_workgroup_processor_mode 1
		.amdhsa_memory_ordered 1
		.amdhsa_forward_progress 1
		.amdhsa_inst_pref_size 6
		.amdhsa_round_robin_scheduling 0
		.amdhsa_exception_fp_ieee_invalid_op 0
		.amdhsa_exception_fp_denorm_src 0
		.amdhsa_exception_fp_ieee_div_zero 0
		.amdhsa_exception_fp_ieee_overflow 0
		.amdhsa_exception_fp_ieee_underflow 0
		.amdhsa_exception_fp_ieee_inexact 0
		.amdhsa_exception_int_div_zero 0
	.end_amdhsa_kernel
	.section	.text._ZL23dequantize_block_iq2_xsI6__halfEvPKvPT_,"axG",@progbits,_ZL23dequantize_block_iq2_xsI6__halfEvPKvPT_,comdat
.Lfunc_end10:
	.size	_ZL23dequantize_block_iq2_xsI6__halfEvPKvPT_, .Lfunc_end10-_ZL23dequantize_block_iq2_xsI6__halfEvPKvPT_
                                        ; -- End function
	.set _ZL23dequantize_block_iq2_xsI6__halfEvPKvPT_.num_vgpr, 20
	.set _ZL23dequantize_block_iq2_xsI6__halfEvPKvPT_.num_agpr, 0
	.set _ZL23dequantize_block_iq2_xsI6__halfEvPKvPT_.numbered_sgpr, 8
	.set _ZL23dequantize_block_iq2_xsI6__halfEvPKvPT_.num_named_barrier, 0
	.set _ZL23dequantize_block_iq2_xsI6__halfEvPKvPT_.private_seg_size, 0
	.set _ZL23dequantize_block_iq2_xsI6__halfEvPKvPT_.uses_vcc, 1
	.set _ZL23dequantize_block_iq2_xsI6__halfEvPKvPT_.uses_flat_scratch, 0
	.set _ZL23dequantize_block_iq2_xsI6__halfEvPKvPT_.has_dyn_sized_stack, 0
	.set _ZL23dequantize_block_iq2_xsI6__halfEvPKvPT_.has_recursion, 0
	.set _ZL23dequantize_block_iq2_xsI6__halfEvPKvPT_.has_indirect_call, 0
	.section	.AMDGPU.csdata,"",@progbits
; Kernel info:
; codeLenInByte = 716
; TotalNumSgprs: 10
; NumVgprs: 20
; ScratchSize: 0
; MemoryBound: 0
; FloatMode: 240
; IeeeMode: 1
; LDSByteSize: 0 bytes/workgroup (compile time only)
; SGPRBlocks: 0
; VGPRBlocks: 2
; NumSGPRsForWavesPerEU: 10
; NumVGPRsForWavesPerEU: 20
; Occupancy: 16
; WaveLimiterHint : 0
; COMPUTE_PGM_RSRC2:SCRATCH_EN: 0
; COMPUTE_PGM_RSRC2:USER_SGPR: 2
; COMPUTE_PGM_RSRC2:TRAP_HANDLER: 0
; COMPUTE_PGM_RSRC2:TGID_X_EN: 1
; COMPUTE_PGM_RSRC2:TGID_Y_EN: 0
; COMPUTE_PGM_RSRC2:TGID_Z_EN: 0
; COMPUTE_PGM_RSRC2:TIDIG_COMP_CNT: 0
	.section	.text._ZL22dequantize_block_iq2_sI6__halfEvPKvPT_,"axG",@progbits,_ZL22dequantize_block_iq2_sI6__halfEvPKvPT_,comdat
	.globl	_ZL22dequantize_block_iq2_sI6__halfEvPKvPT_ ; -- Begin function _ZL22dequantize_block_iq2_sI6__halfEvPKvPT_
	.p2align	8
	.type	_ZL22dequantize_block_iq2_sI6__halfEvPKvPT_,@function
_ZL22dequantize_block_iq2_sI6__halfEvPKvPT_: ; @_ZL22dequantize_block_iq2_sI6__halfEvPKvPT_
; %bb.0:
	s_load_b128 s[0:3], s[0:1], 0x0
	v_and_b32_e32 v3, 7, v0
	s_mov_b32 s4, ttmp9
	s_mov_b32 s5, 0
	v_lshrrev_b32_e32 v4, 3, v0
	s_mul_u64 s[6:7], s[4:5], 0x52
	v_lshlrev_b32_e32 v1, 2, v3
	s_wait_kmcnt 0x0
	s_add_nc_u64 s[0:1], s[0:1], s[6:7]
	s_delay_alu instid0(VALU_DEP_1) | instid1(SALU_CYCLE_1)
	v_add_co_u32 v1, s6, s0, v1
	s_delay_alu instid0(VALU_DEP_1) | instskip(NEXT) | instid1(VALU_DEP_2)
	v_add_co_ci_u32_e64 v2, null, s1, 0, s6
	v_add_co_u32 v1, vcc_lo, v1, v4
	s_delay_alu instid0(VALU_DEP_1)
	v_add_co_ci_u32_e64 v2, null, 0, v2, vcc_lo
	v_lshlrev_b32_e32 v4, 1, v4
	s_clause 0x3
	global_load_u8 v5, v3, s[0:1] offset:66
	global_load_u8 v6, v[1:2], off offset:2
	global_load_i8 v7, v[1:2], off offset:34
	global_load_u8 v8, v3, s[0:1] offset:74
	v_mov_b32_e32 v1, 0
	v_sub_nc_u32_e32 v2, 8, v4
	global_load_u16 v4, v1, s[0:1]
	s_getpc_b64 s[0:1]
	s_wait_alu 0xfffe
	s_sext_i32_i16 s1, s1
	s_add_co_u32 s0, s0, _ZL9iq2s_grid@rel32@lo+12
	s_wait_alu 0xfffe
	s_add_co_ci_u32 s1, s1, _ZL9iq2s_grid@rel32@hi+24
	s_wait_loadcnt 0x4
	v_lshlrev_b32_e32 v1, v2, v5
	v_lshrrev_b32_e32 v5, 2, v0
	s_wait_loadcnt 0x2
	v_and_b32_e32 v9, 2, v7
	v_and_b32_e32 v11, 16, v7
	;; [unrolled: 1-line block ×5, first 2 shown]
	s_wait_loadcnt 0x0
	v_cvt_f32_f16_e32 v4, v4
	s_delay_alu instid0(VALU_DEP_2) | instskip(NEXT) | instid1(VALU_DEP_1)
	v_bfe_u32 v5, v8, v5, 4
	v_cvt_f32_ubyte0_e32 v5, v5
	s_delay_alu instid0(VALU_DEP_1) | instskip(NEXT) | instid1(VALU_DEP_1)
	v_dual_add_f32 v5, 0.5, v5 :: v_dual_and_b32 v0, 0x3f8, v0
	v_dual_mul_f32 v4, v5, v4 :: v_dual_and_b32 v5, 8, v7
	s_delay_alu instid0(VALU_DEP_1) | instskip(SKIP_1) | instid1(VALU_DEP_1)
	v_mul_f32_e32 v4, 0x3e800000, v4
	v_and_or_b32 v1, 0x300, v1, v6
	v_lshlrev_b32_e32 v1, 3, v1
	global_load_b64 v[1:2], v1, s[0:1]
	s_lshl_b64 s[0:1], s[4:5], 9
	s_wait_alu 0xfffe
	s_add_nc_u64 s[0:1], s[2:3], s[0:1]
	s_wait_loadcnt 0x0
	v_cvt_f32_ubyte0_e32 v14, v1
	v_cvt_f32_ubyte1_e32 v15, v1
	v_cvt_f32_ubyte2_e32 v16, v1
	v_cvt_f32_ubyte3_e32 v1, v1
	v_and_b32_e32 v8, 1, v7
	v_cvt_f32_ubyte0_e32 v17, v2
	v_cvt_f32_ubyte1_e32 v18, v2
	v_cvt_f32_ubyte2_e32 v19, v2
	v_cvt_f32_ubyte3_e32 v2, v2
	v_mul_f32_e32 v14, v4, v14
	v_mul_f32_e32 v1, v4, v1
	v_cmp_eq_u16_e32 vcc_lo, 0, v8
	s_delay_alu instid0(VALU_DEP_4)
	v_dual_mul_f32 v2, v4, v2 :: v_dual_lshlrev_b32 v3, 6, v3
	v_dual_mul_f32 v15, v4, v15 :: v_dual_lshlrev_b32 v0, 1, v0
	v_dual_mul_f32 v17, v4, v17 :: v_dual_and_b32 v10, 4, v7
	v_mul_f32_e32 v16, v4, v16
	v_mul_f32_e32 v18, v4, v18
	;; [unrolled: 1-line block ×3, first 2 shown]
	s_wait_alu 0xfffd
	v_cndmask_b32_e64 v4, -v14, v14, vcc_lo
	v_cmp_eq_u16_e32 vcc_lo, 0, v9
	s_wait_alu 0xfffe
	v_add_co_u32 v3, s0, s0, v3
	s_wait_alu 0xf1ff
	v_add_co_ci_u32_e64 v6, null, s1, 0, s0
	s_wait_alu 0xfffd
	v_cndmask_b32_e64 v8, -v15, v15, vcc_lo
	v_cmp_eq_u16_e32 vcc_lo, 0, v10
	s_delay_alu instid0(VALU_DEP_2) | instskip(SKIP_3) | instid1(VALU_DEP_2)
	v_cvt_f16_f32_e32 v8, v8
	s_wait_alu 0xfffd
	v_cndmask_b32_e64 v9, -v16, v16, vcc_lo
	v_cmp_eq_u16_e32 vcc_lo, 0, v5
	v_cvt_f16_f32_e32 v9, v9
	s_wait_alu 0xfffd
	v_cndmask_b32_e64 v1, -v1, v1, vcc_lo
	v_cmp_eq_u16_e32 vcc_lo, 0, v11
	s_delay_alu instid0(VALU_DEP_2) | instskip(SKIP_3) | instid1(VALU_DEP_3)
	v_cvt_f16_f32_e32 v1, v1
	s_wait_alu 0xfffd
	v_cndmask_b32_e64 v5, -v17, v17, vcc_lo
	v_cmp_eq_u16_e32 vcc_lo, 0, v12
	v_pack_b32_f16 v1, v9, v1
	s_delay_alu instid0(VALU_DEP_3) | instskip(SKIP_3) | instid1(VALU_DEP_2)
	v_cvt_f16_f32_e32 v12, v5
	s_wait_alu 0xfffd
	v_cndmask_b32_e64 v10, -v18, v18, vcc_lo
	v_cmp_eq_u16_e32 vcc_lo, 0, v13
	v_cvt_f16_f32_e32 v10, v10
	s_wait_alu 0xfffd
	v_cndmask_b32_e64 v11, -v19, v19, vcc_lo
	v_cmp_gt_i16_e32 vcc_lo, 0, v7
	v_cvt_f16_f32_e32 v7, v4
	s_delay_alu instid0(VALU_DEP_3)
	v_cvt_f16_f32_e32 v11, v11
	s_wait_alu 0xfffd
	v_cndmask_b32_e64 v2, v2, -v2, vcc_lo
	v_add_co_u32 v4, vcc_lo, v3, v0
	s_wait_alu 0xfffd
	v_add_co_ci_u32_e64 v5, null, 0, v6, vcc_lo
	s_delay_alu instid0(VALU_DEP_3) | instskip(SKIP_1) | instid1(VALU_DEP_2)
	v_cvt_f16_f32_e32 v2, v2
	v_pack_b32_f16 v0, v7, v8
	v_pack_b32_f16 v3, v11, v2
	v_pack_b32_f16 v2, v12, v10
	global_store_b128 v[4:5], v[0:3], off
	s_endpgm
	.section	.rodata,"a",@progbits
	.p2align	6, 0x0
	.amdhsa_kernel _ZL22dequantize_block_iq2_sI6__halfEvPKvPT_
		.amdhsa_group_segment_fixed_size 0
		.amdhsa_private_segment_fixed_size 0
		.amdhsa_kernarg_size 16
		.amdhsa_user_sgpr_count 2
		.amdhsa_user_sgpr_dispatch_ptr 0
		.amdhsa_user_sgpr_queue_ptr 0
		.amdhsa_user_sgpr_kernarg_segment_ptr 1
		.amdhsa_user_sgpr_dispatch_id 0
		.amdhsa_user_sgpr_private_segment_size 0
		.amdhsa_wavefront_size32 1
		.amdhsa_uses_dynamic_stack 0
		.amdhsa_enable_private_segment 0
		.amdhsa_system_sgpr_workgroup_id_x 1
		.amdhsa_system_sgpr_workgroup_id_y 0
		.amdhsa_system_sgpr_workgroup_id_z 0
		.amdhsa_system_sgpr_workgroup_info 0
		.amdhsa_system_vgpr_workitem_id 0
		.amdhsa_next_free_vgpr 20
		.amdhsa_next_free_sgpr 8
		.amdhsa_reserve_vcc 1
		.amdhsa_float_round_mode_32 0
		.amdhsa_float_round_mode_16_64 0
		.amdhsa_float_denorm_mode_32 3
		.amdhsa_float_denorm_mode_16_64 3
		.amdhsa_fp16_overflow 0
		.amdhsa_workgroup_processor_mode 1
		.amdhsa_memory_ordered 1
		.amdhsa_forward_progress 1
		.amdhsa_inst_pref_size 6
		.amdhsa_round_robin_scheduling 0
		.amdhsa_exception_fp_ieee_invalid_op 0
		.amdhsa_exception_fp_denorm_src 0
		.amdhsa_exception_fp_ieee_div_zero 0
		.amdhsa_exception_fp_ieee_overflow 0
		.amdhsa_exception_fp_ieee_underflow 0
		.amdhsa_exception_fp_ieee_inexact 0
		.amdhsa_exception_int_div_zero 0
	.end_amdhsa_kernel
	.section	.text._ZL22dequantize_block_iq2_sI6__halfEvPKvPT_,"axG",@progbits,_ZL22dequantize_block_iq2_sI6__halfEvPKvPT_,comdat
.Lfunc_end11:
	.size	_ZL22dequantize_block_iq2_sI6__halfEvPKvPT_, .Lfunc_end11-_ZL22dequantize_block_iq2_sI6__halfEvPKvPT_
                                        ; -- End function
	.set _ZL22dequantize_block_iq2_sI6__halfEvPKvPT_.num_vgpr, 20
	.set _ZL22dequantize_block_iq2_sI6__halfEvPKvPT_.num_agpr, 0
	.set _ZL22dequantize_block_iq2_sI6__halfEvPKvPT_.numbered_sgpr, 8
	.set _ZL22dequantize_block_iq2_sI6__halfEvPKvPT_.num_named_barrier, 0
	.set _ZL22dequantize_block_iq2_sI6__halfEvPKvPT_.private_seg_size, 0
	.set _ZL22dequantize_block_iq2_sI6__halfEvPKvPT_.uses_vcc, 1
	.set _ZL22dequantize_block_iq2_sI6__halfEvPKvPT_.uses_flat_scratch, 0
	.set _ZL22dequantize_block_iq2_sI6__halfEvPKvPT_.has_dyn_sized_stack, 0
	.set _ZL22dequantize_block_iq2_sI6__halfEvPKvPT_.has_recursion, 0
	.set _ZL22dequantize_block_iq2_sI6__halfEvPKvPT_.has_indirect_call, 0
	.section	.AMDGPU.csdata,"",@progbits
; Kernel info:
; codeLenInByte = 696
; TotalNumSgprs: 10
; NumVgprs: 20
; ScratchSize: 0
; MemoryBound: 0
; FloatMode: 240
; IeeeMode: 1
; LDSByteSize: 0 bytes/workgroup (compile time only)
; SGPRBlocks: 0
; VGPRBlocks: 2
; NumSGPRsForWavesPerEU: 10
; NumVGPRsForWavesPerEU: 20
; Occupancy: 16
; WaveLimiterHint : 0
; COMPUTE_PGM_RSRC2:SCRATCH_EN: 0
; COMPUTE_PGM_RSRC2:USER_SGPR: 2
; COMPUTE_PGM_RSRC2:TRAP_HANDLER: 0
; COMPUTE_PGM_RSRC2:TGID_X_EN: 1
; COMPUTE_PGM_RSRC2:TGID_Y_EN: 0
; COMPUTE_PGM_RSRC2:TGID_Z_EN: 0
; COMPUTE_PGM_RSRC2:TIDIG_COMP_CNT: 0
	.section	.text._ZL24dequantize_block_iq3_xxsI6__halfEvPKvPT_,"axG",@progbits,_ZL24dequantize_block_iq3_xxsI6__halfEvPKvPT_,comdat
	.globl	_ZL24dequantize_block_iq3_xxsI6__halfEvPKvPT_ ; -- Begin function _ZL24dequantize_block_iq3_xxsI6__halfEvPKvPT_
	.p2align	8
	.type	_ZL24dequantize_block_iq3_xxsI6__halfEvPKvPT_,@function
_ZL24dequantize_block_iq3_xxsI6__halfEvPKvPT_: ; @_ZL24dequantize_block_iq3_xxsI6__halfEvPKvPT_
; %bb.0:
	s_load_b128 s[0:3], s[0:1], 0x0
	v_and_b32_e32 v5, 7, v0
	s_mov_b32 s4, ttmp9
	s_mov_b32 s5, 0
	v_lshrrev_b32_e32 v6, 3, v0
	s_mul_u64 s[6:7], s[4:5], 0x62
	v_lshlrev_b32_e32 v1, 3, v5
	v_dual_mov_b32 v7, 0 :: v_dual_lshlrev_b32 v2, 2, v5
	s_delay_alu instid0(VALU_DEP_3) | instskip(SKIP_2) | instid1(SALU_CYCLE_1)
	v_lshlrev_b32_e32 v3, 1, v6
	s_wait_kmcnt 0x0
	s_add_nc_u64 s[0:1], s[0:1], s[6:7]
	v_add_co_u32 v4, s6, s0, v1
	s_delay_alu instid0(VALU_DEP_1) | instskip(SKIP_4) | instid1(VALU_DEP_1)
	v_add_co_ci_u32_e64 v8, null, s1, 0, s6
	v_sub_co_u32 v9, s6, 0, v2
	s_wait_alu 0xf1ff
	v_sub_co_ci_u32_e64 v10, null, 0, 0, s6
	v_add_co_u32 v1, vcc_lo, v4, v3
	v_add_co_ci_u32_e64 v2, null, 0, v8, vcc_lo
	v_add_co_u32 v3, vcc_lo, v4, v9
	s_wait_alu 0xfffd
	v_add_co_ci_u32_e64 v4, null, v8, v10, vcc_lo
	s_clause 0x2
	global_load_u16 v1, v[1:2], off offset:2
	global_load_u16 v2, v7, s[0:1]
	global_load_b32 v3, v[3:4], off offset:66
	v_mul_u32_u24_e32 v4, 7, v6
	s_getpc_b64 s[0:1]
	s_wait_alu 0xfffe
	s_sext_i32_i16 s1, s1
	s_add_co_u32 s0, s0, _ZL12ksigns_iq2xs@rel32@lo+12
	s_wait_alu 0xfffe
	s_add_co_ci_u32 s1, s1, _ZL12ksigns_iq2xs@rel32@hi+24
	s_getpc_b64 s[6:7]
	s_wait_alu 0xfffe
	s_sext_i32_i16 s7, s7
	s_add_co_u32 s6, s6, _ZL11iq3xxs_grid@rel32@lo+12
	s_wait_alu 0xfffe
	s_add_co_ci_u32 s7, s7, _ZL11iq3xxs_grid@rel32@hi+24
	s_wait_loadcnt 0x1
	v_cvt_f32_f16_e32 v2, v2
	s_wait_loadcnt 0x0
	v_bfe_u32 v4, v3, v4, 7
	v_lshrrev_b32_e32 v3, 28, v3
	global_load_i8 v7, v4, s[0:1]
	v_cvt_f32_ubyte0_e32 v3, v3
	v_and_b32_e32 v6, 0xff, v1
	v_lshrrev_b16 v1, 8, v1
	s_lshl_b64 s[0:1], s[4:5], 9
	s_delay_alu instid0(VALU_DEP_3) | instskip(SKIP_2) | instid1(VALU_DEP_1)
	v_add_f32_e32 v3, 0.5, v3
	s_wait_alu 0xfffe
	s_add_nc_u64 s[0:1], s[2:3], s[0:1]
	v_dual_mul_f32 v2, v3, v2 :: v_dual_lshlrev_b32 v5, 6, v5
	s_delay_alu instid0(VALU_DEP_1) | instskip(SKIP_2) | instid1(VALU_DEP_3)
	v_mul_f32_e32 v2, 0.5, v2
	v_lshlrev_b32_e32 v6, 2, v6
	s_wait_alu 0xfffe
	v_add_co_u32 v3, s0, s0, v5
	s_wait_alu 0xf1ff
	v_add_co_ci_u32_e64 v5, null, s1, 0, s0
	global_load_b32 v6, v6, s[6:7]
	s_wait_loadcnt 0x1
	v_and_b32_e32 v12, 4, v7
	v_and_b32_e32 v14, 8, v7
	;; [unrolled: 1-line block ×4, first 2 shown]
	s_wait_loadcnt 0x0
	v_cvt_f32_ubyte0_e32 v13, v6
	v_cvt_f32_ubyte1_e32 v15, v6
	v_cvt_f32_ubyte2_e32 v16, v6
	v_cvt_f32_ubyte3_e32 v6, v6
	v_and_b32_e32 v1, 0xffff, v1
	v_dual_mul_f32 v13, v2, v13 :: v_dual_and_b32 v0, 0x3f8, v0
	v_mul_f32_e32 v15, v2, v15
	s_delay_alu instid0(VALU_DEP_3)
	v_dual_mul_f32 v6, v2, v6 :: v_dual_lshlrev_b32 v1, 2, v1
	v_mul_f32_e32 v16, v2, v16
	global_load_b32 v1, v1, s[6:7]
	s_wait_loadcnt 0x0
	v_cvt_f32_ubyte1_e32 v18, v1
	v_and_b32_e32 v8, 1, v7
	v_cvt_f32_ubyte0_e32 v17, v1
	v_cvt_f32_ubyte2_e32 v19, v1
	v_cvt_f32_ubyte3_e32 v1, v1
	v_and_b32_e32 v10, 2, v7
	v_cmp_eq_u16_e32 vcc_lo, 0, v8
	s_delay_alu instid0(VALU_DEP_3) | instskip(SKIP_4) | instid1(VALU_DEP_3)
	v_dual_mul_f32 v1, v2, v1 :: v_dual_lshlrev_b32 v0, 1, v0
	s_wait_alu 0xfffd
	v_cndmask_b32_e64 v8, -v13, v13, vcc_lo
	v_cmp_eq_u16_e32 vcc_lo, 0, v10
	v_mul_f32_e32 v13, v2, v17
	v_cvt_f16_f32_e32 v8, v8
	s_wait_alu 0xfffd
	v_cndmask_b32_e64 v10, -v15, v15, vcc_lo
	v_cmp_eq_u16_e32 vcc_lo, 0, v12
	v_mul_f32_e32 v15, v2, v18
	s_wait_alu 0xfffd
	v_cndmask_b32_e64 v12, -v16, v16, vcc_lo
	v_cmp_eq_u16_e32 vcc_lo, 0, v14
	v_mul_f32_e32 v16, v2, v19
	s_wait_alu 0xfffd
	v_cndmask_b32_e64 v6, -v6, v6, vcc_lo
	v_cmp_eq_u16_e32 vcc_lo, 0, v9
	v_cvt_f16_f32_e32 v9, v10
	s_delay_alu instid0(VALU_DEP_3) | instskip(SKIP_4) | instid1(VALU_DEP_3)
	v_cvt_f16_f32_e32 v6, v6
	s_wait_alu 0xfffd
	v_cndmask_b32_e64 v2, -v13, v13, vcc_lo
	v_cmp_eq_u16_e32 vcc_lo, 0, v11
	v_cvt_f16_f32_e32 v11, v12
	v_cvt_f16_f32_e32 v2, v2
	s_wait_alu 0xfffd
	v_cndmask_b32_e64 v10, -v15, v15, vcc_lo
	v_cmp_gt_u32_e32 vcc_lo, 64, v4
	s_wait_alu 0xfffd
	v_cndmask_b32_e64 v4, -v16, v16, vcc_lo
	v_cmp_gt_i16_e32 vcc_lo, 0, v7
	v_cvt_f16_f32_e32 v7, v10
	s_delay_alu instid0(VALU_DEP_3)
	v_cvt_f16_f32_e32 v10, v4
	s_wait_alu 0xfffd
	v_cndmask_b32_e64 v1, v1, -v1, vcc_lo
	v_add_co_u32 v4, vcc_lo, v3, v0
	s_wait_alu 0xfffd
	v_add_co_ci_u32_e64 v5, null, 0, v5, vcc_lo
	s_delay_alu instid0(VALU_DEP_3) | instskip(SKIP_3) | instid1(VALU_DEP_4)
	v_cvt_f16_f32_e32 v12, v1
	v_pack_b32_f16 v1, v11, v6
	v_pack_b32_f16 v2, v2, v7
	;; [unrolled: 1-line block ×4, first 2 shown]
	global_store_b128 v[4:5], v[0:3], off
	s_endpgm
	.section	.rodata,"a",@progbits
	.p2align	6, 0x0
	.amdhsa_kernel _ZL24dequantize_block_iq3_xxsI6__halfEvPKvPT_
		.amdhsa_group_segment_fixed_size 0
		.amdhsa_private_segment_fixed_size 0
		.amdhsa_kernarg_size 16
		.amdhsa_user_sgpr_count 2
		.amdhsa_user_sgpr_dispatch_ptr 0
		.amdhsa_user_sgpr_queue_ptr 0
		.amdhsa_user_sgpr_kernarg_segment_ptr 1
		.amdhsa_user_sgpr_dispatch_id 0
		.amdhsa_user_sgpr_private_segment_size 0
		.amdhsa_wavefront_size32 1
		.amdhsa_uses_dynamic_stack 0
		.amdhsa_enable_private_segment 0
		.amdhsa_system_sgpr_workgroup_id_x 1
		.amdhsa_system_sgpr_workgroup_id_y 0
		.amdhsa_system_sgpr_workgroup_id_z 0
		.amdhsa_system_sgpr_workgroup_info 0
		.amdhsa_system_vgpr_workitem_id 0
		.amdhsa_next_free_vgpr 20
		.amdhsa_next_free_sgpr 8
		.amdhsa_reserve_vcc 1
		.amdhsa_float_round_mode_32 0
		.amdhsa_float_round_mode_16_64 0
		.amdhsa_float_denorm_mode_32 3
		.amdhsa_float_denorm_mode_16_64 3
		.amdhsa_fp16_overflow 0
		.amdhsa_workgroup_processor_mode 1
		.amdhsa_memory_ordered 1
		.amdhsa_forward_progress 1
		.amdhsa_inst_pref_size 6
		.amdhsa_round_robin_scheduling 0
		.amdhsa_exception_fp_ieee_invalid_op 0
		.amdhsa_exception_fp_denorm_src 0
		.amdhsa_exception_fp_ieee_div_zero 0
		.amdhsa_exception_fp_ieee_overflow 0
		.amdhsa_exception_fp_ieee_underflow 0
		.amdhsa_exception_fp_ieee_inexact 0
		.amdhsa_exception_int_div_zero 0
	.end_amdhsa_kernel
	.section	.text._ZL24dequantize_block_iq3_xxsI6__halfEvPKvPT_,"axG",@progbits,_ZL24dequantize_block_iq3_xxsI6__halfEvPKvPT_,comdat
.Lfunc_end12:
	.size	_ZL24dequantize_block_iq3_xxsI6__halfEvPKvPT_, .Lfunc_end12-_ZL24dequantize_block_iq3_xxsI6__halfEvPKvPT_
                                        ; -- End function
	.set _ZL24dequantize_block_iq3_xxsI6__halfEvPKvPT_.num_vgpr, 20
	.set _ZL24dequantize_block_iq3_xxsI6__halfEvPKvPT_.num_agpr, 0
	.set _ZL24dequantize_block_iq3_xxsI6__halfEvPKvPT_.numbered_sgpr, 8
	.set _ZL24dequantize_block_iq3_xxsI6__halfEvPKvPT_.num_named_barrier, 0
	.set _ZL24dequantize_block_iq3_xxsI6__halfEvPKvPT_.private_seg_size, 0
	.set _ZL24dequantize_block_iq3_xxsI6__halfEvPKvPT_.uses_vcc, 1
	.set _ZL24dequantize_block_iq3_xxsI6__halfEvPKvPT_.uses_flat_scratch, 0
	.set _ZL24dequantize_block_iq3_xxsI6__halfEvPKvPT_.has_dyn_sized_stack, 0
	.set _ZL24dequantize_block_iq3_xxsI6__halfEvPKvPT_.has_recursion, 0
	.set _ZL24dequantize_block_iq3_xxsI6__halfEvPKvPT_.has_indirect_call, 0
	.section	.AMDGPU.csdata,"",@progbits
; Kernel info:
; codeLenInByte = 760
; TotalNumSgprs: 10
; NumVgprs: 20
; ScratchSize: 0
; MemoryBound: 0
; FloatMode: 240
; IeeeMode: 1
; LDSByteSize: 0 bytes/workgroup (compile time only)
; SGPRBlocks: 0
; VGPRBlocks: 2
; NumSGPRsForWavesPerEU: 10
; NumVGPRsForWavesPerEU: 20
; Occupancy: 16
; WaveLimiterHint : 0
; COMPUTE_PGM_RSRC2:SCRATCH_EN: 0
; COMPUTE_PGM_RSRC2:USER_SGPR: 2
; COMPUTE_PGM_RSRC2:TRAP_HANDLER: 0
; COMPUTE_PGM_RSRC2:TGID_X_EN: 1
; COMPUTE_PGM_RSRC2:TGID_Y_EN: 0
; COMPUTE_PGM_RSRC2:TGID_Z_EN: 0
; COMPUTE_PGM_RSRC2:TIDIG_COMP_CNT: 0
	.section	.text._ZL22dequantize_block_iq1_sI6__halfEvPKvPT_,"axG",@progbits,_ZL22dequantize_block_iq1_sI6__halfEvPKvPT_,comdat
	.globl	_ZL22dequantize_block_iq1_sI6__halfEvPKvPT_ ; -- Begin function _ZL22dequantize_block_iq1_sI6__halfEvPKvPT_
	.p2align	8
	.type	_ZL22dequantize_block_iq1_sI6__halfEvPKvPT_,@function
_ZL22dequantize_block_iq1_sI6__halfEvPKvPT_: ; @_ZL22dequantize_block_iq1_sI6__halfEvPKvPT_
; %bb.0:
	s_load_b128 s[0:3], s[0:1], 0x0
	v_and_b32_e32 v3, 7, v0
	s_mov_b32 s4, ttmp9
	s_mov_b32 s5, 0
	v_lshrrev_b32_e32 v6, 3, v0
	s_mul_u64 s[6:7], s[4:5], 50
	v_lshlrev_b32_e32 v1, 1, v3
	v_and_b32_e32 v0, 0x3f8, v0
	s_delay_alu instid0(VALU_DEP_1) | instskip(SKIP_2) | instid1(SALU_CYCLE_1)
	v_lshlrev_b32_e32 v7, 1, v0
	s_wait_kmcnt 0x0
	s_add_nc_u64 s[0:1], s[0:1], s[6:7]
	v_add_co_u32 v2, s6, s0, v1
	s_delay_alu instid0(VALU_DEP_1) | instskip(SKIP_2) | instid1(VALU_DEP_1)
	v_add_co_ci_u32_e64 v4, null, s1, 0, s6
	global_load_u16 v5, v1, s[0:1] offset:34
	v_add_co_u32 v1, vcc_lo, v2, v1
	v_add_co_ci_u32_e64 v2, null, 0, v4, vcc_lo
	s_delay_alu instid0(VALU_DEP_2) | instskip(SKIP_1) | instid1(VALU_DEP_2)
	v_add_co_u32 v1, vcc_lo, v1, v6
	s_wait_alu 0xfffd
	v_add_co_ci_u32_e64 v2, null, 0, v2, vcc_lo
	global_load_u8 v1, v[1:2], off offset:2
	v_mul_u32_u24_e32 v2, 3, v6
	v_mov_b32_e32 v6, 0xbf600000
	s_wait_loadcnt 0x1
	v_and_b32_e32 v4, 0xffff, v5
	v_cmp_lt_i16_e32 vcc_lo, -1, v5
	s_delay_alu instid0(VALU_DEP_2) | instskip(SKIP_1) | instid1(VALU_DEP_2)
	v_lshrrev_b32_e32 v2, v2, v4
	v_dual_mov_b32 v4, 0 :: v_dual_lshlrev_b32 v3, 6, v3
	v_lshlrev_b32_e32 v2, 8, v2
	s_wait_loadcnt 0x0
	s_delay_alu instid0(VALU_DEP_1)
	v_and_or_b32 v1, 0x700, v2, v1
	global_load_u16 v2, v4, s[0:1]
	v_lshrrev_b16 v4, 11, v5
	s_getpc_b64 s[0:1]
	s_wait_alu 0xfffe
	s_sext_i32_i16 s1, s1
	s_add_co_u32 s0, s0, _ZL13iq1s_grid_gpu@rel32@lo+12
	s_wait_alu 0xfffe
	s_add_co_ci_u32 s1, s1, _ZL13iq1s_grid_gpu@rel32@hi+24
	v_and_b32_e32 v4, 14, v4
	s_delay_alu instid0(VALU_DEP_1) | instskip(SKIP_2) | instid1(VALU_DEP_2)
	v_or_b32_e32 v4, 1, v4
	s_wait_loadcnt 0x0
	v_cvt_f32_f16_e32 v0, v2
	v_cvt_f32_ubyte0_e32 v2, v4
	v_lshlrev_b32_e32 v1, 2, v1
	global_load_b32 v1, v1, s[0:1]
	s_lshl_b64 s[0:1], s[4:5], 9
	s_wait_alu 0xfffe
	s_add_nc_u64 s[0:1], s[2:3], s[0:1]
	s_wait_alu 0xfffe
	v_add_co_u32 v4, s0, s0, v3
	s_wait_alu 0xfffd
	v_cndmask_b32_e32 v3, 0xbf900000, v6, vcc_lo
	v_mul_f32_e32 v6, v0, v2
	s_wait_alu 0xf1ff
	v_add_co_ci_u32_e64 v8, null, s1, 0, s0
	s_wait_loadcnt 0x0
	v_and_b32_e32 v2, 15, v1
	v_bfe_u32 v5, v1, 8, 4
	v_bfe_u32 v9, v1, 16, 4
	v_bfe_u32 v10, v1, 4, 4
	v_bfe_u32 v11, v1, 12, 4
	v_bfe_u32 v12, v1, 20, 4
	v_cvt_f32_ubyte0_e32 v2, v2
	v_cvt_f32_ubyte0_e32 v5, v5
	;; [unrolled: 1-line block ×5, first 2 shown]
	v_and_b32_e32 v0, 0xf000000, v1
	v_lshrrev_b32_e32 v1, 28, v1
	v_cvt_f32_ubyte0_e32 v12, v12
	v_add_f32_e32 v2, v3, v2
	v_add_f32_e32 v13, v3, v5
	;; [unrolled: 1-line block ×3, first 2 shown]
	v_cvt_f32_ubyte0_e32 v1, v1
	v_add_f32_e32 v10, v3, v10
	v_add_f32_e32 v11, v3, v11
	v_cvt_f32_ubyte3_e32 v0, v0
	v_add_f32_e32 v12, v3, v12
	v_add_f32_e32 v14, v3, v1
	v_fma_mixlo_f16 v1, v6, v5, 0
	v_add_co_u32 v4, vcc_lo, v4, v7
	v_add_f32_e32 v9, v3, v0
	v_fma_mixlo_f16 v0, v6, v2, 0
	v_fma_mixlo_f16 v2, v6, v10, 0
	;; [unrolled: 1-line block ×3, first 2 shown]
	s_wait_alu 0xfffd
	v_add_co_ci_u32_e64 v5, null, 0, v8, vcc_lo
	v_fma_mixhi_f16 v1, v6, v9, 0
	v_fma_mixhi_f16 v2, v6, v11, 0
	v_fma_mixhi_f16 v3, v6, v14, 0
	v_fma_mixhi_f16 v0, v6, v13, 0
	global_store_b128 v[4:5], v[0:3], off
	s_endpgm
	.section	.rodata,"a",@progbits
	.p2align	6, 0x0
	.amdhsa_kernel _ZL22dequantize_block_iq1_sI6__halfEvPKvPT_
		.amdhsa_group_segment_fixed_size 0
		.amdhsa_private_segment_fixed_size 0
		.amdhsa_kernarg_size 16
		.amdhsa_user_sgpr_count 2
		.amdhsa_user_sgpr_dispatch_ptr 0
		.amdhsa_user_sgpr_queue_ptr 0
		.amdhsa_user_sgpr_kernarg_segment_ptr 1
		.amdhsa_user_sgpr_dispatch_id 0
		.amdhsa_user_sgpr_private_segment_size 0
		.amdhsa_wavefront_size32 1
		.amdhsa_uses_dynamic_stack 0
		.amdhsa_enable_private_segment 0
		.amdhsa_system_sgpr_workgroup_id_x 1
		.amdhsa_system_sgpr_workgroup_id_y 0
		.amdhsa_system_sgpr_workgroup_id_z 0
		.amdhsa_system_sgpr_workgroup_info 0
		.amdhsa_system_vgpr_workitem_id 0
		.amdhsa_next_free_vgpr 15
		.amdhsa_next_free_sgpr 8
		.amdhsa_reserve_vcc 1
		.amdhsa_float_round_mode_32 0
		.amdhsa_float_round_mode_16_64 0
		.amdhsa_float_denorm_mode_32 3
		.amdhsa_float_denorm_mode_16_64 3
		.amdhsa_fp16_overflow 0
		.amdhsa_workgroup_processor_mode 1
		.amdhsa_memory_ordered 1
		.amdhsa_forward_progress 1
		.amdhsa_inst_pref_size 5
		.amdhsa_round_robin_scheduling 0
		.amdhsa_exception_fp_ieee_invalid_op 0
		.amdhsa_exception_fp_denorm_src 0
		.amdhsa_exception_fp_ieee_div_zero 0
		.amdhsa_exception_fp_ieee_overflow 0
		.amdhsa_exception_fp_ieee_underflow 0
		.amdhsa_exception_fp_ieee_inexact 0
		.amdhsa_exception_int_div_zero 0
	.end_amdhsa_kernel
	.section	.text._ZL22dequantize_block_iq1_sI6__halfEvPKvPT_,"axG",@progbits,_ZL22dequantize_block_iq1_sI6__halfEvPKvPT_,comdat
.Lfunc_end13:
	.size	_ZL22dequantize_block_iq1_sI6__halfEvPKvPT_, .Lfunc_end13-_ZL22dequantize_block_iq1_sI6__halfEvPKvPT_
                                        ; -- End function
	.set _ZL22dequantize_block_iq1_sI6__halfEvPKvPT_.num_vgpr, 15
	.set _ZL22dequantize_block_iq1_sI6__halfEvPKvPT_.num_agpr, 0
	.set _ZL22dequantize_block_iq1_sI6__halfEvPKvPT_.numbered_sgpr, 8
	.set _ZL22dequantize_block_iq1_sI6__halfEvPKvPT_.num_named_barrier, 0
	.set _ZL22dequantize_block_iq1_sI6__halfEvPKvPT_.private_seg_size, 0
	.set _ZL22dequantize_block_iq1_sI6__halfEvPKvPT_.uses_vcc, 1
	.set _ZL22dequantize_block_iq1_sI6__halfEvPKvPT_.uses_flat_scratch, 0
	.set _ZL22dequantize_block_iq1_sI6__halfEvPKvPT_.has_dyn_sized_stack, 0
	.set _ZL22dequantize_block_iq1_sI6__halfEvPKvPT_.has_recursion, 0
	.set _ZL22dequantize_block_iq1_sI6__halfEvPKvPT_.has_indirect_call, 0
	.section	.AMDGPU.csdata,"",@progbits
; Kernel info:
; codeLenInByte = 576
; TotalNumSgprs: 10
; NumVgprs: 15
; ScratchSize: 0
; MemoryBound: 0
; FloatMode: 240
; IeeeMode: 1
; LDSByteSize: 0 bytes/workgroup (compile time only)
; SGPRBlocks: 0
; VGPRBlocks: 1
; NumSGPRsForWavesPerEU: 10
; NumVGPRsForWavesPerEU: 15
; Occupancy: 16
; WaveLimiterHint : 0
; COMPUTE_PGM_RSRC2:SCRATCH_EN: 0
; COMPUTE_PGM_RSRC2:USER_SGPR: 2
; COMPUTE_PGM_RSRC2:TRAP_HANDLER: 0
; COMPUTE_PGM_RSRC2:TGID_X_EN: 1
; COMPUTE_PGM_RSRC2:TGID_Y_EN: 0
; COMPUTE_PGM_RSRC2:TGID_Z_EN: 0
; COMPUTE_PGM_RSRC2:TIDIG_COMP_CNT: 0
	.section	.text._ZL22dequantize_block_iq1_mI6__halfEvPKvPT_,"axG",@progbits,_ZL22dequantize_block_iq1_mI6__halfEvPKvPT_,comdat
	.globl	_ZL22dequantize_block_iq1_mI6__halfEvPKvPT_ ; -- Begin function _ZL22dequantize_block_iq1_mI6__halfEvPKvPT_
	.p2align	8
	.type	_ZL22dequantize_block_iq1_mI6__halfEvPKvPT_,@function
_ZL22dequantize_block_iq1_mI6__halfEvPKvPT_: ; @_ZL22dequantize_block_iq1_mI6__halfEvPKvPT_
; %bb.0:
	s_load_b128 s[0:3], s[0:1], 0x0
	v_and_b32_e32 v5, 7, v0
	s_mov_b32 s4, ttmp9
	s_mov_b32 s5, 0
	v_lshrrev_b32_e32 v2, 3, v0
	s_mul_u64 s[6:7], s[4:5], 56
	v_lshlrev_b32_e32 v1, 2, v5
	v_lshrrev_b32_e32 v3, 4, v0
	v_lshlrev_b32_e32 v6, 1, v5
	s_delay_alu instid0(VALU_DEP_1) | instskip(SKIP_2) | instid1(SALU_CYCLE_1)
	v_add_nc_u32_e32 v7, v6, v3
	s_wait_kmcnt 0x0
	s_add_nc_u64 s[0:1], s[0:1], s[6:7]
	v_add_co_u32 v1, s6, s0, v1
	s_delay_alu instid0(VALU_DEP_1) | instskip(NEXT) | instid1(VALU_DEP_2)
	v_add_co_ci_u32_e64 v4, null, s1, 0, s6
	v_add_co_u32 v1, vcc_lo, v1, v2
	s_delay_alu instid0(VALU_DEP_1)
	v_add_co_ci_u32_e64 v2, null, 0, v4, vcc_lo
	s_clause 0x1
	global_load_u8 v8, v[1:2], off
	global_load_u8 v9, v7, s[0:1] offset:32
	v_add_nc_u16 v1, v6, v3
	v_mov_b32_e32 v2, 0
	v_lshrrev_b32_e32 v6, 1, v0
	s_delay_alu instid0(VALU_DEP_3) | instskip(NEXT) | instid1(VALU_DEP_2)
	v_lshrrev_b16 v1, 1, v1
	v_and_b32_e32 v6, 4, v6
	s_delay_alu instid0(VALU_DEP_2)
	v_and_b32_e32 v3, 62, v1
	global_load_b64 v[1:2], v2, s[0:1] offset:48
	v_add_co_u32 v3, s0, s0, v3
	s_wait_alu 0xf1ff
	v_add_co_ci_u32_e64 v4, null, s1, 0, s0
	s_getpc_b64 s[0:1]
	s_wait_alu 0xfffe
	s_sext_i32_i16 s1, s1
	s_add_co_u32 s0, s0, _ZL13iq1s_grid_gpu@rel32@lo+12
	s_wait_alu 0xfffe
	s_add_co_ci_u32 s1, s1, _ZL13iq1s_grid_gpu@rel32@hi+24
	global_load_u16 v3, v[3:4], off offset:48
	s_wait_loadcnt 0x2
	v_lshrrev_b32_e32 v4, v6, v9
	s_delay_alu instid0(VALU_DEP_1) | instskip(NEXT) | instid1(VALU_DEP_1)
	v_lshlrev_b32_e32 v6, 8, v4
	v_and_or_b32 v6, 0x700, v6, v8
	v_mov_b32_e32 v8, 0xbf600000
	s_delay_alu instid0(VALU_DEP_2)
	v_lshlrev_b32_e32 v6, 2, v6
	global_load_b32 v6, v6, s[0:1]
	s_lshl_b64 s[0:1], s[4:5], 9
	s_wait_loadcnt 0x2
	v_readfirstlane_b32 s4, v2
	v_readfirstlane_b32 s5, v1
	v_lshlrev_b32_e32 v1, 6, v5
	s_wait_alu 0xfffe
	s_add_nc_u64 s[0:1], s[2:3], s[0:1]
	s_lshr_b32 s6, s4, 16
	s_bfe_u32 s7, s5, 0x4000c
	s_lshr_b32 s5, s5, 24
	s_lshr_b32 s4, s4, 4
	s_and_b32 s5, s5, 0xf0
	s_and_b32 s4, s4, 0xf00
	s_wait_alu 0xfffe
	s_or_b32 s5, s5, s7
	s_and_b32 s6, s6, 0xf000
	s_or_b32 s4, s5, s4
	s_wait_alu 0xfffe
	s_or_b32 s4, s4, s6
	s_delay_alu instid0(SALU_CYCLE_1)
	s_cvt_f32_f16 s2, s4
	s_wait_loadcnt 0x0
	v_bfe_u32 v10, v6, 4, 4
	v_bfe_u32 v11, v6, 12, 4
	;; [unrolled: 1-line block ×4, first 2 shown]
	s_delay_alu instid0(VALU_DEP_4)
	v_cvt_f32_ubyte0_e32 v10, v10
	v_and_b32_e32 v7, 3, v7
	v_cvt_f32_ubyte0_e32 v11, v11
	v_and_b32_e32 v0, 0x3f8, v0
	v_cvt_f32_ubyte0_e32 v9, v9
	v_cvt_f32_ubyte0_e32 v12, v12
	v_mul_u32_u24_e32 v2, 3, v7
	s_delay_alu instid0(VALU_DEP_4) | instskip(NEXT) | instid1(VALU_DEP_2)
	v_lshlrev_b32_e32 v5, 1, v0
	v_lshrrev_b32_e32 v0, v2, v3
	v_and_b32_e32 v2, 8, v4
	v_bfe_u32 v3, v6, 8, 4
	v_add_co_u32 v4, s0, s0, v1
	s_delay_alu instid0(VALU_DEP_4) | instskip(NEXT) | instid1(VALU_DEP_4)
	v_lshlrev_b32_e32 v0, 1, v0
	v_cmp_eq_u32_e32 vcc_lo, 0, v2
	v_and_b32_e32 v2, 15, v6
	v_cvt_f32_ubyte0_e32 v3, v3
	s_wait_alu 0xf1ff
	v_add_co_ci_u32_e64 v7, null, s1, 0, s0
	v_and_or_b32 v0, v0, 14, 1
	s_wait_alu 0xfffd
	v_cndmask_b32_e32 v1, 0xbf900000, v8, vcc_lo
	v_cvt_f32_ubyte0_e32 v2, v2
	s_delay_alu instid0(VALU_DEP_3) | instskip(NEXT) | instid1(VALU_DEP_3)
	v_cvt_f32_ubyte0_e32 v0, v0
	v_add_f32_e32 v13, v1, v3
	s_delay_alu instid0(VALU_DEP_3)
	v_add_f32_e32 v2, v1, v2
	v_add_f32_e32 v3, v1, v9
	v_add_f32_e32 v10, v1, v10
	v_mul_f32_e32 v8, s2, v0
	v_and_b32_e32 v0, 0xf000000, v6
	v_lshrrev_b32_e32 v6, 28, v6
	v_add_f32_e32 v12, v1, v12
	v_add_f32_e32 v11, v1, v11
	s_delay_alu instid0(VALU_DEP_4) | instskip(NEXT) | instid1(VALU_DEP_4)
	v_cvt_f32_ubyte3_e32 v0, v0
	v_cvt_f32_ubyte0_e32 v6, v6
	s_delay_alu instid0(VALU_DEP_2) | instskip(NEXT) | instid1(VALU_DEP_2)
	v_add_f32_e32 v9, v1, v0
	v_add_f32_e32 v6, v1, v6
	v_fma_mixlo_f16 v0, v8, v2, 0
	v_fma_mixlo_f16 v1, v8, v3, 0
	;; [unrolled: 1-line block ×4, first 2 shown]
	v_add_co_u32 v4, vcc_lo, v4, v5
	s_wait_alu 0xfffd
	v_add_co_ci_u32_e64 v5, null, 0, v7, vcc_lo
	s_delay_alu instid0(VALU_DEP_3)
	v_fma_mixhi_f16 v3, v8, v6, 0
	v_fma_mixhi_f16 v2, v8, v11, 0
	;; [unrolled: 1-line block ×4, first 2 shown]
	global_store_b128 v[4:5], v[0:3], off
	s_endpgm
	.section	.rodata,"a",@progbits
	.p2align	6, 0x0
	.amdhsa_kernel _ZL22dequantize_block_iq1_mI6__halfEvPKvPT_
		.amdhsa_group_segment_fixed_size 0
		.amdhsa_private_segment_fixed_size 0
		.amdhsa_kernarg_size 16
		.amdhsa_user_sgpr_count 2
		.amdhsa_user_sgpr_dispatch_ptr 0
		.amdhsa_user_sgpr_queue_ptr 0
		.amdhsa_user_sgpr_kernarg_segment_ptr 1
		.amdhsa_user_sgpr_dispatch_id 0
		.amdhsa_user_sgpr_private_segment_size 0
		.amdhsa_wavefront_size32 1
		.amdhsa_uses_dynamic_stack 0
		.amdhsa_enable_private_segment 0
		.amdhsa_system_sgpr_workgroup_id_x 1
		.amdhsa_system_sgpr_workgroup_id_y 0
		.amdhsa_system_sgpr_workgroup_id_z 0
		.amdhsa_system_sgpr_workgroup_info 0
		.amdhsa_system_vgpr_workitem_id 0
		.amdhsa_next_free_vgpr 14
		.amdhsa_next_free_sgpr 8
		.amdhsa_reserve_vcc 1
		.amdhsa_float_round_mode_32 0
		.amdhsa_float_round_mode_16_64 0
		.amdhsa_float_denorm_mode_32 3
		.amdhsa_float_denorm_mode_16_64 3
		.amdhsa_fp16_overflow 0
		.amdhsa_workgroup_processor_mode 1
		.amdhsa_memory_ordered 1
		.amdhsa_forward_progress 1
		.amdhsa_inst_pref_size 6
		.amdhsa_round_robin_scheduling 0
		.amdhsa_exception_fp_ieee_invalid_op 0
		.amdhsa_exception_fp_denorm_src 0
		.amdhsa_exception_fp_ieee_div_zero 0
		.amdhsa_exception_fp_ieee_overflow 0
		.amdhsa_exception_fp_ieee_underflow 0
		.amdhsa_exception_fp_ieee_inexact 0
		.amdhsa_exception_int_div_zero 0
	.end_amdhsa_kernel
	.section	.text._ZL22dequantize_block_iq1_mI6__halfEvPKvPT_,"axG",@progbits,_ZL22dequantize_block_iq1_mI6__halfEvPKvPT_,comdat
.Lfunc_end14:
	.size	_ZL22dequantize_block_iq1_mI6__halfEvPKvPT_, .Lfunc_end14-_ZL22dequantize_block_iq1_mI6__halfEvPKvPT_
                                        ; -- End function
	.set _ZL22dequantize_block_iq1_mI6__halfEvPKvPT_.num_vgpr, 14
	.set _ZL22dequantize_block_iq1_mI6__halfEvPKvPT_.num_agpr, 0
	.set _ZL22dequantize_block_iq1_mI6__halfEvPKvPT_.numbered_sgpr, 8
	.set _ZL22dequantize_block_iq1_mI6__halfEvPKvPT_.num_named_barrier, 0
	.set _ZL22dequantize_block_iq1_mI6__halfEvPKvPT_.private_seg_size, 0
	.set _ZL22dequantize_block_iq1_mI6__halfEvPKvPT_.uses_vcc, 1
	.set _ZL22dequantize_block_iq1_mI6__halfEvPKvPT_.uses_flat_scratch, 0
	.set _ZL22dequantize_block_iq1_mI6__halfEvPKvPT_.has_dyn_sized_stack, 0
	.set _ZL22dequantize_block_iq1_mI6__halfEvPKvPT_.has_recursion, 0
	.set _ZL22dequantize_block_iq1_mI6__halfEvPKvPT_.has_indirect_call, 0
	.section	.AMDGPU.csdata,"",@progbits
; Kernel info:
; codeLenInByte = 736
; TotalNumSgprs: 10
; NumVgprs: 14
; ScratchSize: 0
; MemoryBound: 0
; FloatMode: 240
; IeeeMode: 1
; LDSByteSize: 0 bytes/workgroup (compile time only)
; SGPRBlocks: 0
; VGPRBlocks: 1
; NumSGPRsForWavesPerEU: 10
; NumVGPRsForWavesPerEU: 14
; Occupancy: 16
; WaveLimiterHint : 0
; COMPUTE_PGM_RSRC2:SCRATCH_EN: 0
; COMPUTE_PGM_RSRC2:USER_SGPR: 2
; COMPUTE_PGM_RSRC2:TRAP_HANDLER: 0
; COMPUTE_PGM_RSRC2:TGID_X_EN: 1
; COMPUTE_PGM_RSRC2:TGID_Y_EN: 0
; COMPUTE_PGM_RSRC2:TGID_Z_EN: 0
; COMPUTE_PGM_RSRC2:TIDIG_COMP_CNT: 0
	.section	.text._ZL23dequantize_block_iq4_nlI6__halfEvPKvPT_,"axG",@progbits,_ZL23dequantize_block_iq4_nlI6__halfEvPKvPT_,comdat
	.globl	_ZL23dequantize_block_iq4_nlI6__halfEvPKvPT_ ; -- Begin function _ZL23dequantize_block_iq4_nlI6__halfEvPKvPT_
	.p2align	8
	.type	_ZL23dequantize_block_iq4_nlI6__halfEvPKvPT_,@function
_ZL23dequantize_block_iq4_nlI6__halfEvPKvPT_: ; @_ZL23dequantize_block_iq4_nlI6__halfEvPKvPT_
; %bb.0:
	s_load_b128 s[0:3], s[0:1], 0x0
	s_mov_b32 s4, ttmp9
	s_mov_b32 s5, 0
	v_and_b32_e32 v4, 7, v0
	s_mul_u64 s[6:7], s[4:5], 0x90
	v_lshrrev_b32_e32 v2, 1, v0
	s_delay_alu instid0(VALU_DEP_1) | instskip(SKIP_2) | instid1(SALU_CYCLE_1)
	v_and_b32_e32 v5, 0x1fc, v2
	s_wait_kmcnt 0x0
	s_add_nc_u64 s[0:1], s[0:1], s[6:7]
	v_mad_co_u64_u32 v[0:1], null, v4, 18, s[0:1]
	s_getpc_b64 s[0:1]
	s_wait_alu 0xfffe
	s_sext_i32_i16 s1, s1
	s_add_co_u32 s0, s0, _ZL13kvalues_iq4nl@rel32@lo+12
	s_wait_alu 0xfffe
	s_add_co_ci_u32 s1, s1, _ZL13kvalues_iq4nl@rel32@hi+24
	v_add_co_u32 v2, vcc_lo, v0, v5
	s_delay_alu instid0(VALU_DEP_1)
	v_add_co_ci_u32_e64 v3, null, 0, v1, vcc_lo
	global_load_b32 v2, v[2:3], off offset:2
	s_wait_loadcnt 0x0
	v_and_b32_e32 v3, 15, v2
	v_bfe_u32 v6, v2, 4, 4
	v_bfe_u32 v7, v2, 8, 4
	;; [unrolled: 1-line block ×6, first 2 shown]
	v_lshrrev_b32_e32 v2, 28, v2
	s_clause 0x7
	global_load_i8 v3, v3, s[0:1]
	global_load_i8 v6, v6, s[0:1]
	;; [unrolled: 1-line block ×8, first 2 shown]
	global_load_u16 v12, v[0:1], off
	v_lshlrev_b32_e32 v0, 6, v4
	s_lshl_b64 s[0:1], s[4:5], 9
	v_lshlrev_b32_e32 v4, 1, v5
	s_wait_alu 0xfffe
	s_add_nc_u64 s[0:1], s[2:3], s[0:1]
	s_wait_alu 0xfffe
	v_add_co_u32 v5, s0, s0, v0
	s_wait_alu 0xf1ff
	v_add_co_ci_u32_e64 v13, null, s1, 0, s0
	s_delay_alu instid0(VALU_DEP_2) | instskip(SKIP_1) | instid1(VALU_DEP_2)
	v_add_co_u32 v4, vcc_lo, v5, v4
	s_wait_alu 0xfffd
	v_add_co_ci_u32_e64 v5, null, 0, v13, vcc_lo
	s_wait_loadcnt 0x8
	v_cvt_f32_i32_e32 v0, v3
	s_wait_loadcnt 0x7
	v_cvt_f32_i32_e32 v1, v6
	;; [unrolled: 2-line block ×8, first 2 shown]
	s_wait_loadcnt 0x0
	v_fma_mixlo_f16 v0, v12, v0, 0 op_sel_hi:[1,0,0]
	v_fma_mixlo_f16 v2, v12, v1, 0 op_sel_hi:[1,0,0]
	;; [unrolled: 1-line block ×4, first 2 shown]
	s_delay_alu instid0(VALU_DEP_4) | instskip(NEXT) | instid1(VALU_DEP_4)
	v_fma_mixhi_f16 v0, v12, v6, 0 op_sel_hi:[1,0,0]
	v_fma_mixhi_f16 v2, v12, v7, 0 op_sel_hi:[1,0,0]
	s_delay_alu instid0(VALU_DEP_4) | instskip(NEXT) | instid1(VALU_DEP_4)
	v_fma_mixhi_f16 v1, v12, v9, 0 op_sel_hi:[1,0,0]
	v_fma_mixhi_f16 v3, v12, v10, 0 op_sel_hi:[1,0,0]
	s_clause 0x1
	global_store_b64 v[4:5], v[0:1], off
	global_store_b64 v[4:5], v[2:3], off offset:32
	s_endpgm
	.section	.rodata,"a",@progbits
	.p2align	6, 0x0
	.amdhsa_kernel _ZL23dequantize_block_iq4_nlI6__halfEvPKvPT_
		.amdhsa_group_segment_fixed_size 0
		.amdhsa_private_segment_fixed_size 0
		.amdhsa_kernarg_size 16
		.amdhsa_user_sgpr_count 2
		.amdhsa_user_sgpr_dispatch_ptr 0
		.amdhsa_user_sgpr_queue_ptr 0
		.amdhsa_user_sgpr_kernarg_segment_ptr 1
		.amdhsa_user_sgpr_dispatch_id 0
		.amdhsa_user_sgpr_private_segment_size 0
		.amdhsa_wavefront_size32 1
		.amdhsa_uses_dynamic_stack 0
		.amdhsa_enable_private_segment 0
		.amdhsa_system_sgpr_workgroup_id_x 1
		.amdhsa_system_sgpr_workgroup_id_y 0
		.amdhsa_system_sgpr_workgroup_id_z 0
		.amdhsa_system_sgpr_workgroup_info 0
		.amdhsa_system_vgpr_workitem_id 0
		.amdhsa_next_free_vgpr 14
		.amdhsa_next_free_sgpr 8
		.amdhsa_reserve_vcc 1
		.amdhsa_float_round_mode_32 0
		.amdhsa_float_round_mode_16_64 0
		.amdhsa_float_denorm_mode_32 3
		.amdhsa_float_denorm_mode_16_64 3
		.amdhsa_fp16_overflow 0
		.amdhsa_workgroup_processor_mode 1
		.amdhsa_memory_ordered 1
		.amdhsa_forward_progress 1
		.amdhsa_inst_pref_size 5
		.amdhsa_round_robin_scheduling 0
		.amdhsa_exception_fp_ieee_invalid_op 0
		.amdhsa_exception_fp_denorm_src 0
		.amdhsa_exception_fp_ieee_div_zero 0
		.amdhsa_exception_fp_ieee_overflow 0
		.amdhsa_exception_fp_ieee_underflow 0
		.amdhsa_exception_fp_ieee_inexact 0
		.amdhsa_exception_int_div_zero 0
	.end_amdhsa_kernel
	.section	.text._ZL23dequantize_block_iq4_nlI6__halfEvPKvPT_,"axG",@progbits,_ZL23dequantize_block_iq4_nlI6__halfEvPKvPT_,comdat
.Lfunc_end15:
	.size	_ZL23dequantize_block_iq4_nlI6__halfEvPKvPT_, .Lfunc_end15-_ZL23dequantize_block_iq4_nlI6__halfEvPKvPT_
                                        ; -- End function
	.set _ZL23dequantize_block_iq4_nlI6__halfEvPKvPT_.num_vgpr, 14
	.set _ZL23dequantize_block_iq4_nlI6__halfEvPKvPT_.num_agpr, 0
	.set _ZL23dequantize_block_iq4_nlI6__halfEvPKvPT_.numbered_sgpr, 8
	.set _ZL23dequantize_block_iq4_nlI6__halfEvPKvPT_.num_named_barrier, 0
	.set _ZL23dequantize_block_iq4_nlI6__halfEvPKvPT_.private_seg_size, 0
	.set _ZL23dequantize_block_iq4_nlI6__halfEvPKvPT_.uses_vcc, 1
	.set _ZL23dequantize_block_iq4_nlI6__halfEvPKvPT_.uses_flat_scratch, 0
	.set _ZL23dequantize_block_iq4_nlI6__halfEvPKvPT_.has_dyn_sized_stack, 0
	.set _ZL23dequantize_block_iq4_nlI6__halfEvPKvPT_.has_recursion, 0
	.set _ZL23dequantize_block_iq4_nlI6__halfEvPKvPT_.has_indirect_call, 0
	.section	.AMDGPU.csdata,"",@progbits
; Kernel info:
; codeLenInByte = 536
; TotalNumSgprs: 10
; NumVgprs: 14
; ScratchSize: 0
; MemoryBound: 0
; FloatMode: 240
; IeeeMode: 1
; LDSByteSize: 0 bytes/workgroup (compile time only)
; SGPRBlocks: 0
; VGPRBlocks: 1
; NumSGPRsForWavesPerEU: 10
; NumVGPRsForWavesPerEU: 14
; Occupancy: 16
; WaveLimiterHint : 0
; COMPUTE_PGM_RSRC2:SCRATCH_EN: 0
; COMPUTE_PGM_RSRC2:USER_SGPR: 2
; COMPUTE_PGM_RSRC2:TRAP_HANDLER: 0
; COMPUTE_PGM_RSRC2:TGID_X_EN: 1
; COMPUTE_PGM_RSRC2:TGID_Y_EN: 0
; COMPUTE_PGM_RSRC2:TGID_Z_EN: 0
; COMPUTE_PGM_RSRC2:TIDIG_COMP_CNT: 0
	.section	.text._ZL23dequantize_block_iq4_xsI6__halfEvPKvPT_,"axG",@progbits,_ZL23dequantize_block_iq4_xsI6__halfEvPKvPT_,comdat
	.globl	_ZL23dequantize_block_iq4_xsI6__halfEvPKvPT_ ; -- Begin function _ZL23dequantize_block_iq4_xsI6__halfEvPKvPT_
	.p2align	8
	.type	_ZL23dequantize_block_iq4_xsI6__halfEvPKvPT_,@function
_ZL23dequantize_block_iq4_xsI6__halfEvPKvPT_: ; @_ZL23dequantize_block_iq4_xsI6__halfEvPKvPT_
; %bb.0:
	s_load_b128 s[0:3], s[0:1], 0x0
	v_and_b32_e32 v3, 7, v0
	s_mov_b32 s4, ttmp9
	s_mov_b32 s5, 0
	v_lshrrev_b32_e32 v1, 1, v0
	s_mul_u64 s[6:7], s[4:5], 0x88
	v_lshlrev_b32_e32 v2, 4, v3
	v_bfe_u32 v5, v0, 1, 2
	v_lshlrev_b32_e32 v0, 2, v0
	v_and_b32_e32 v4, 0x1fc, v1
	s_delay_alu instid0(VALU_DEP_2) | instskip(SKIP_2) | instid1(SALU_CYCLE_1)
	v_and_b32_e32 v0, 4, v0
	s_wait_kmcnt 0x0
	s_add_nc_u64 s[0:1], s[0:1], s[6:7]
	v_add_co_u32 v1, s6, s0, v2
	s_delay_alu instid0(VALU_DEP_1) | instskip(SKIP_2) | instid1(VALU_DEP_1)
	v_add_co_ci_u32_e64 v2, null, s1, 0, s6
	global_load_u8 v5, v5, s[0:1] offset:4
	v_add_co_u32 v1, vcc_lo, v1, v4
	v_add_co_ci_u32_e64 v2, null, 0, v2, vcc_lo
	v_lshlrev_b32_e32 v4, 1, v4
	global_load_b32 v1, v[1:2], off offset:8
	v_mov_b32_e32 v2, 0
	global_load_b32 v2, v2, s[0:1]
	s_getpc_b64 s[0:1]
	s_wait_alu 0xfffe
	s_sext_i32_i16 s1, s1
	s_add_co_u32 s0, s0, _ZL13kvalues_iq4nl@rel32@lo+12
	s_wait_alu 0xfffe
	s_add_co_ci_u32 s1, s1, _ZL13kvalues_iq4nl@rel32@hi+24
	s_wait_loadcnt 0x2
	v_bfe_u32 v0, v5, v0, 4
	s_wait_loadcnt 0x1
	v_and_b32_e32 v6, 15, v1
	v_bfe_u32 v7, v1, 4, 4
	v_bfe_u32 v8, v1, 8, 4
	;; [unrolled: 1-line block ×6, first 2 shown]
	v_lshrrev_b32_e32 v1, 28, v1
	s_clause 0x7
	global_load_i8 v6, v6, s[0:1]
	global_load_i8 v7, v7, s[0:1]
	;; [unrolled: 1-line block ×8, first 2 shown]
	s_wait_loadcnt 0x8
	v_lshrrev_b32_e32 v14, 16, v2
	v_cvt_f32_f16_e32 v2, v2
	v_lshlrev_b32_e32 v13, 1, v3
	v_lshlrev_b32_e32 v3, 6, v3
	s_lshl_b64 s[0:1], s[4:5], 9
	s_wait_alu 0xfffe
	s_add_nc_u64 s[0:1], s[2:3], s[0:1]
	v_lshrrev_b32_e32 v13, v13, v14
	s_delay_alu instid0(VALU_DEP_1) | instskip(NEXT) | instid1(VALU_DEP_1)
	v_lshlrev_b32_e32 v5, 4, v13
	v_and_or_b32 v0, v5, 48, v0
	s_wait_alu 0xfffe
	v_add_co_u32 v5, s0, s0, v3
	s_wait_alu 0xf1ff
	v_add_co_ci_u32_e64 v13, null, s1, 0, s0
	v_subrev_nc_u32_e32 v0, 32, v0
	s_delay_alu instid0(VALU_DEP_3) | instskip(SKIP_1) | instid1(VALU_DEP_3)
	v_add_co_u32 v4, vcc_lo, v5, v4
	s_wait_alu 0xfffd
	v_add_co_ci_u32_e64 v5, null, 0, v13, vcc_lo
	s_delay_alu instid0(VALU_DEP_3) | instskip(NEXT) | instid1(VALU_DEP_1)
	v_cvt_f32_i32_e32 v0, v0
	v_mul_f32_e32 v14, v2, v0
	s_wait_loadcnt 0x7
	v_cvt_f32_i32_e32 v0, v6
	s_wait_loadcnt 0x6
	v_cvt_f32_i32_e32 v2, v7
	;; [unrolled: 2-line block ×8, first 2 shown]
	v_fma_mixlo_f16 v0, v14, v0, 0
	v_fma_mixlo_f16 v1, v14, v3, 0
	;; [unrolled: 1-line block ×4, first 2 shown]
	s_delay_alu instid0(VALU_DEP_4) | instskip(NEXT) | instid1(VALU_DEP_4)
	v_fma_mixhi_f16 v0, v14, v6, 0
	v_fma_mixhi_f16 v1, v14, v9, 0
	s_delay_alu instid0(VALU_DEP_4) | instskip(NEXT) | instid1(VALU_DEP_4)
	v_fma_mixhi_f16 v2, v14, v7, 0
	v_fma_mixhi_f16 v3, v14, v10, 0
	s_clause 0x1
	global_store_b64 v[4:5], v[0:1], off
	global_store_b64 v[4:5], v[2:3], off offset:32
	s_endpgm
	.section	.rodata,"a",@progbits
	.p2align	6, 0x0
	.amdhsa_kernel _ZL23dequantize_block_iq4_xsI6__halfEvPKvPT_
		.amdhsa_group_segment_fixed_size 0
		.amdhsa_private_segment_fixed_size 0
		.amdhsa_kernarg_size 16
		.amdhsa_user_sgpr_count 2
		.amdhsa_user_sgpr_dispatch_ptr 0
		.amdhsa_user_sgpr_queue_ptr 0
		.amdhsa_user_sgpr_kernarg_segment_ptr 1
		.amdhsa_user_sgpr_dispatch_id 0
		.amdhsa_user_sgpr_private_segment_size 0
		.amdhsa_wavefront_size32 1
		.amdhsa_uses_dynamic_stack 0
		.amdhsa_enable_private_segment 0
		.amdhsa_system_sgpr_workgroup_id_x 1
		.amdhsa_system_sgpr_workgroup_id_y 0
		.amdhsa_system_sgpr_workgroup_id_z 0
		.amdhsa_system_sgpr_workgroup_info 0
		.amdhsa_system_vgpr_workitem_id 0
		.amdhsa_next_free_vgpr 15
		.amdhsa_next_free_sgpr 8
		.amdhsa_reserve_vcc 1
		.amdhsa_float_round_mode_32 0
		.amdhsa_float_round_mode_16_64 0
		.amdhsa_float_denorm_mode_32 3
		.amdhsa_float_denorm_mode_16_64 3
		.amdhsa_fp16_overflow 0
		.amdhsa_workgroup_processor_mode 1
		.amdhsa_memory_ordered 1
		.amdhsa_forward_progress 1
		.amdhsa_inst_pref_size 5
		.amdhsa_round_robin_scheduling 0
		.amdhsa_exception_fp_ieee_invalid_op 0
		.amdhsa_exception_fp_denorm_src 0
		.amdhsa_exception_fp_ieee_div_zero 0
		.amdhsa_exception_fp_ieee_overflow 0
		.amdhsa_exception_fp_ieee_underflow 0
		.amdhsa_exception_fp_ieee_inexact 0
		.amdhsa_exception_int_div_zero 0
	.end_amdhsa_kernel
	.section	.text._ZL23dequantize_block_iq4_xsI6__halfEvPKvPT_,"axG",@progbits,_ZL23dequantize_block_iq4_xsI6__halfEvPKvPT_,comdat
.Lfunc_end16:
	.size	_ZL23dequantize_block_iq4_xsI6__halfEvPKvPT_, .Lfunc_end16-_ZL23dequantize_block_iq4_xsI6__halfEvPKvPT_
                                        ; -- End function
	.set _ZL23dequantize_block_iq4_xsI6__halfEvPKvPT_.num_vgpr, 15
	.set _ZL23dequantize_block_iq4_xsI6__halfEvPKvPT_.num_agpr, 0
	.set _ZL23dequantize_block_iq4_xsI6__halfEvPKvPT_.numbered_sgpr, 8
	.set _ZL23dequantize_block_iq4_xsI6__halfEvPKvPT_.num_named_barrier, 0
	.set _ZL23dequantize_block_iq4_xsI6__halfEvPKvPT_.private_seg_size, 0
	.set _ZL23dequantize_block_iq4_xsI6__halfEvPKvPT_.uses_vcc, 1
	.set _ZL23dequantize_block_iq4_xsI6__halfEvPKvPT_.uses_flat_scratch, 0
	.set _ZL23dequantize_block_iq4_xsI6__halfEvPKvPT_.has_dyn_sized_stack, 0
	.set _ZL23dequantize_block_iq4_xsI6__halfEvPKvPT_.has_recursion, 0
	.set _ZL23dequantize_block_iq4_xsI6__halfEvPKvPT_.has_indirect_call, 0
	.section	.AMDGPU.csdata,"",@progbits
; Kernel info:
; codeLenInByte = 640
; TotalNumSgprs: 10
; NumVgprs: 15
; ScratchSize: 0
; MemoryBound: 0
; FloatMode: 240
; IeeeMode: 1
; LDSByteSize: 0 bytes/workgroup (compile time only)
; SGPRBlocks: 0
; VGPRBlocks: 1
; NumSGPRsForWavesPerEU: 10
; NumVGPRsForWavesPerEU: 15
; Occupancy: 16
; WaveLimiterHint : 0
; COMPUTE_PGM_RSRC2:SCRATCH_EN: 0
; COMPUTE_PGM_RSRC2:USER_SGPR: 2
; COMPUTE_PGM_RSRC2:TRAP_HANDLER: 0
; COMPUTE_PGM_RSRC2:TGID_X_EN: 1
; COMPUTE_PGM_RSRC2:TGID_Y_EN: 0
; COMPUTE_PGM_RSRC2:TGID_Z_EN: 0
; COMPUTE_PGM_RSRC2:TIDIG_COMP_CNT: 0
	.section	.text._ZL22dequantize_block_iq3_sI6__halfEvPKvPT_,"axG",@progbits,_ZL22dequantize_block_iq3_sI6__halfEvPKvPT_,comdat
	.globl	_ZL22dequantize_block_iq3_sI6__halfEvPKvPT_ ; -- Begin function _ZL22dequantize_block_iq3_sI6__halfEvPKvPT_
	.p2align	8
	.type	_ZL22dequantize_block_iq3_sI6__halfEvPKvPT_,@function
_ZL22dequantize_block_iq3_sI6__halfEvPKvPT_: ; @_ZL22dequantize_block_iq3_sI6__halfEvPKvPT_
; %bb.0:
	s_load_b128 s[0:3], s[0:1], 0x0
	s_mov_b32 s4, ttmp9
	s_mov_b32 s5, 0
	v_and_b32_e32 v5, 7, v0
	s_mul_u64 s[6:7], s[4:5], 0x6e
	v_lshrrev_b32_e32 v6, 3, v0
	v_bfe_u32 v8, v0, 1, 2
	s_delay_alu instid0(VALU_DEP_3) | instskip(NEXT) | instid1(VALU_DEP_3)
	v_lshlrev_b32_e32 v3, 3, v5
	v_lshlrev_b32_e32 v7, 1, v6
	s_wait_kmcnt 0x0
	s_add_nc_u64 s[0:1], s[0:1], s[6:7]
	s_delay_alu instid0(SALU_CYCLE_1) | instskip(NEXT) | instid1(VALU_DEP_1)
	v_add_co_u32 v1, s6, s0, v5
	v_add_co_ci_u32_e64 v2, null, s1, 0, s6
	v_add_co_u32 v3, s6, s0, v3
	s_wait_alu 0xf1ff
	v_add_co_ci_u32_e64 v4, null, s1, 0, s6
	s_delay_alu instid0(VALU_DEP_3) | instskip(NEXT) | instid1(VALU_DEP_3)
	v_mad_co_u64_u32 v[1:2], null, v5, 3, v[1:2]
	v_add_co_u32 v3, vcc_lo, v3, v7
	s_delay_alu instid0(VALU_DEP_1) | instskip(NEXT) | instid1(VALU_DEP_3)
	v_add_co_ci_u32_e64 v4, null, 0, v4, vcc_lo
	v_add_co_u32 v1, vcc_lo, v1, v6
	s_wait_alu 0xfffd
	s_delay_alu instid0(VALU_DEP_4)
	v_add_co_ci_u32_e64 v2, null, 0, v2, vcc_lo
	s_clause 0x3
	global_load_u16 v3, v[3:4], off offset:2
	global_load_u8 v4, v8, s[0:1] offset:106
	global_load_i8 v1, v[1:2], off offset:74
	global_load_u8 v2, v5, s[0:1] offset:66
	v_sub_nc_u32_e32 v8, 8, v7
	v_sub_nc_u32_e32 v7, 7, v7
	s_wait_loadcnt 0x3
	v_lshrrev_b16 v6, 8, v3
	s_wait_loadcnt 0x1
	v_dual_mov_b32 v9, 0 :: v_dual_and_b32 v10, 2, v1
	s_wait_loadcnt 0x0
	v_lshlrev_b32_e32 v8, v8, v2
	v_lshlrev_b32_e32 v2, v7, v2
	v_and_b32_e32 v6, 0xffff, v6
	global_load_u16 v7, v9, s[0:1]
	s_getpc_b64 s[0:1]
	s_wait_alu 0xfffe
	s_sext_i32_i16 s1, s1
	s_add_co_u32 s0, s0, _ZL9iq3s_grid@rel32@lo+12
	s_wait_alu 0xfffe
	s_add_co_ci_u32 s1, s1, _ZL9iq3s_grid@rel32@hi+24
	v_and_b32_e32 v9, 16, v1
	v_and_b32_e32 v11, 32, v1
	v_and_or_b32 v2, 0x100, v2, v6
	v_lshlrev_b32_e32 v6, 2, v0
	v_and_b32_e32 v12, 4, v1
	v_and_b32_e32 v13, 64, v1
	;; [unrolled: 1-line block ×3, first 2 shown]
	s_delay_alu instid0(VALU_DEP_4) | instskip(NEXT) | instid1(VALU_DEP_1)
	v_and_b32_e32 v6, 4, v6
	v_lshrrev_b32_e32 v4, v6, v4
	s_delay_alu instid0(VALU_DEP_1) | instskip(NEXT) | instid1(VALU_DEP_1)
	v_lshlrev_b32_e32 v4, 1, v4
	v_and_or_b32 v4, v4, 30, 1
	s_delay_alu instid0(VALU_DEP_1) | instskip(SKIP_2) | instid1(VALU_DEP_1)
	v_cvt_f32_ubyte0_e32 v4, v4
	s_wait_loadcnt 0x0
	v_cvt_f32_f16_e32 v7, v7
	v_dual_mul_f32 v4, v7, v4 :: v_dual_and_b32 v3, 0xff, v3
	v_lshlrev_b32_e32 v2, 2, v2
	s_delay_alu instid0(VALU_DEP_2) | instskip(SKIP_1) | instid1(VALU_DEP_2)
	v_and_or_b32 v3, 0x100, v8, v3
	v_and_b32_e32 v8, 1, v1
	v_lshlrev_b32_e32 v3, 2, v3
	s_delay_alu instid0(VALU_DEP_2)
	v_cmp_eq_u16_e32 vcc_lo, 0, v8
	s_clause 0x1
	global_load_b32 v3, v3, s[0:1]
	global_load_b32 v2, v2, s[0:1]
	s_lshl_b64 s[0:1], s[4:5], 9
	s_wait_alu 0xfffe
	s_add_nc_u64 s[0:1], s[2:3], s[0:1]
	s_wait_loadcnt 0x1
	v_cvt_f32_ubyte0_e32 v7, v3
	s_wait_loadcnt 0x0
	v_cvt_f32_ubyte0_e32 v15, v2
	v_cvt_f32_ubyte1_e32 v16, v3
	v_cvt_f32_ubyte1_e32 v17, v2
	v_cvt_f32_ubyte2_e32 v18, v3
	v_cvt_f32_ubyte2_e32 v19, v2
	v_cvt_f32_ubyte3_e32 v3, v3
	v_cvt_f32_ubyte3_e32 v2, v2
	v_dual_mul_f32 v7, v4, v7 :: v_dual_and_b32 v0, 0x3f8, v0
	v_mul_f32_e32 v15, v4, v15
	v_mul_f32_e32 v16, v4, v16
	;; [unrolled: 1-line block ×7, first 2 shown]
	s_wait_alu 0xfffd
	v_cndmask_b32_e64 v4, -v7, v7, vcc_lo
	v_cmp_eq_u16_e32 vcc_lo, 0, v9
	v_lshlrev_b32_e32 v5, 6, v5
	v_lshlrev_b32_e32 v0, 1, v0
	s_wait_alu 0xfffd
	v_cndmask_b32_e64 v7, -v15, v15, vcc_lo
	v_cmp_eq_u16_e32 vcc_lo, 0, v10
	s_wait_alu 0xfffe
	v_add_co_u32 v5, s0, s0, v5
	s_wait_alu 0xf1ff
	v_add_co_ci_u32_e64 v6, null, s1, 0, s0
	s_wait_alu 0xfffd
	v_cndmask_b32_e64 v8, -v16, v16, vcc_lo
	v_cmp_eq_u16_e32 vcc_lo, 0, v11
	s_wait_alu 0xfffd
	v_cndmask_b32_e64 v9, -v17, v17, vcc_lo
	v_cmp_eq_u16_e32 vcc_lo, 0, v12
	v_cvt_f16_f32_e32 v12, v4
	s_wait_alu 0xfffd
	v_cndmask_b32_e64 v10, -v18, v18, vcc_lo
	v_cmp_eq_u16_e32 vcc_lo, 0, v13
	s_wait_alu 0xfffd
	v_cndmask_b32_e64 v11, -v19, v19, vcc_lo
	v_cmp_eq_u16_e32 vcc_lo, 0, v14
	s_wait_alu 0xfffd
	v_cndmask_b32_e64 v3, -v3, v3, vcc_lo
	v_cmp_gt_i16_e32 vcc_lo, 0, v1
	s_wait_alu 0xfffd
	v_cndmask_b32_e64 v1, v2, -v2, vcc_lo
	v_cvt_f16_f32_e32 v2, v7
	v_cvt_f16_f32_e32 v7, v8
	;; [unrolled: 1-line block ×7, first 2 shown]
	v_add_co_u32 v4, vcc_lo, v5, v0
	s_wait_alu 0xfffd
	v_add_co_ci_u32_e64 v5, null, 0, v6, vcc_lo
	s_delay_alu instid0(VALU_DEP_3)
	v_pack_b32_f16 v3, v10, v1
	v_pack_b32_f16 v2, v2, v8
	;; [unrolled: 1-line block ×4, first 2 shown]
	global_store_b128 v[4:5], v[0:3], off
	s_endpgm
	.section	.rodata,"a",@progbits
	.p2align	6, 0x0
	.amdhsa_kernel _ZL22dequantize_block_iq3_sI6__halfEvPKvPT_
		.amdhsa_group_segment_fixed_size 0
		.amdhsa_private_segment_fixed_size 0
		.amdhsa_kernarg_size 16
		.amdhsa_user_sgpr_count 2
		.amdhsa_user_sgpr_dispatch_ptr 0
		.amdhsa_user_sgpr_queue_ptr 0
		.amdhsa_user_sgpr_kernarg_segment_ptr 1
		.amdhsa_user_sgpr_dispatch_id 0
		.amdhsa_user_sgpr_private_segment_size 0
		.amdhsa_wavefront_size32 1
		.amdhsa_uses_dynamic_stack 0
		.amdhsa_enable_private_segment 0
		.amdhsa_system_sgpr_workgroup_id_x 1
		.amdhsa_system_sgpr_workgroup_id_y 0
		.amdhsa_system_sgpr_workgroup_id_z 0
		.amdhsa_system_sgpr_workgroup_info 0
		.amdhsa_system_vgpr_workitem_id 0
		.amdhsa_next_free_vgpr 20
		.amdhsa_next_free_sgpr 8
		.amdhsa_reserve_vcc 1
		.amdhsa_float_round_mode_32 0
		.amdhsa_float_round_mode_16_64 0
		.amdhsa_float_denorm_mode_32 3
		.amdhsa_float_denorm_mode_16_64 3
		.amdhsa_fp16_overflow 0
		.amdhsa_workgroup_processor_mode 1
		.amdhsa_memory_ordered 1
		.amdhsa_forward_progress 1
		.amdhsa_inst_pref_size 7
		.amdhsa_round_robin_scheduling 0
		.amdhsa_exception_fp_ieee_invalid_op 0
		.amdhsa_exception_fp_denorm_src 0
		.amdhsa_exception_fp_ieee_div_zero 0
		.amdhsa_exception_fp_ieee_overflow 0
		.amdhsa_exception_fp_ieee_underflow 0
		.amdhsa_exception_fp_ieee_inexact 0
		.amdhsa_exception_int_div_zero 0
	.end_amdhsa_kernel
	.section	.text._ZL22dequantize_block_iq3_sI6__halfEvPKvPT_,"axG",@progbits,_ZL22dequantize_block_iq3_sI6__halfEvPKvPT_,comdat
.Lfunc_end17:
	.size	_ZL22dequantize_block_iq3_sI6__halfEvPKvPT_, .Lfunc_end17-_ZL22dequantize_block_iq3_sI6__halfEvPKvPT_
                                        ; -- End function
	.set _ZL22dequantize_block_iq3_sI6__halfEvPKvPT_.num_vgpr, 20
	.set _ZL22dequantize_block_iq3_sI6__halfEvPKvPT_.num_agpr, 0
	.set _ZL22dequantize_block_iq3_sI6__halfEvPKvPT_.numbered_sgpr, 8
	.set _ZL22dequantize_block_iq3_sI6__halfEvPKvPT_.num_named_barrier, 0
	.set _ZL22dequantize_block_iq3_sI6__halfEvPKvPT_.private_seg_size, 0
	.set _ZL22dequantize_block_iq3_sI6__halfEvPKvPT_.uses_vcc, 1
	.set _ZL22dequantize_block_iq3_sI6__halfEvPKvPT_.uses_flat_scratch, 0
	.set _ZL22dequantize_block_iq3_sI6__halfEvPKvPT_.has_dyn_sized_stack, 0
	.set _ZL22dequantize_block_iq3_sI6__halfEvPKvPT_.has_recursion, 0
	.set _ZL22dequantize_block_iq3_sI6__halfEvPKvPT_.has_indirect_call, 0
	.section	.AMDGPU.csdata,"",@progbits
; Kernel info:
; codeLenInByte = 812
; TotalNumSgprs: 10
; NumVgprs: 20
; ScratchSize: 0
; MemoryBound: 0
; FloatMode: 240
; IeeeMode: 1
; LDSByteSize: 0 bytes/workgroup (compile time only)
; SGPRBlocks: 0
; VGPRBlocks: 2
; NumSGPRsForWavesPerEU: 10
; NumVGPRsForWavesPerEU: 20
; Occupancy: 16
; WaveLimiterHint : 0
; COMPUTE_PGM_RSRC2:SCRATCH_EN: 0
; COMPUTE_PGM_RSRC2:USER_SGPR: 2
; COMPUTE_PGM_RSRC2:TRAP_HANDLER: 0
; COMPUTE_PGM_RSRC2:TGID_X_EN: 1
; COMPUTE_PGM_RSRC2:TGID_Y_EN: 0
; COMPUTE_PGM_RSRC2:TGID_Z_EN: 0
; COMPUTE_PGM_RSRC2:TIDIG_COMP_CNT: 0
	.section	.text._ZL22dequantize_block_mxfp4I6__halfEvPKvPT_,"axG",@progbits,_ZL22dequantize_block_mxfp4I6__halfEvPKvPT_,comdat
	.globl	_ZL22dequantize_block_mxfp4I6__halfEvPKvPT_ ; -- Begin function _ZL22dequantize_block_mxfp4I6__halfEvPKvPT_
	.p2align	8
	.type	_ZL22dequantize_block_mxfp4I6__halfEvPKvPT_,@function
_ZL22dequantize_block_mxfp4I6__halfEvPKvPT_: ; @_ZL22dequantize_block_mxfp4I6__halfEvPKvPT_
; %bb.0:
	s_load_b128 s[0:3], s[0:1], 0x0
	s_mov_b32 s4, ttmp9
	s_mov_b32 s5, 0
	v_and_b32_e32 v4, 7, v0
	s_mul_u64 s[6:7], s[4:5], 0x88
	v_lshrrev_b32_e32 v2, 1, v0
	s_delay_alu instid0(VALU_DEP_1)
	v_and_b32_e32 v5, 0x1fc, v2
	s_wait_kmcnt 0x0
	s_add_nc_u64 s[0:1], s[0:1], s[6:7]
	s_mov_b32 s6, 0.5
	v_mad_co_u64_u32 v[0:1], null, v4, 17, s[0:1]
	s_getpc_b64 s[0:1]
	s_wait_alu 0xfffe
	s_sext_i32_i16 s1, s1
	s_add_co_u32 s0, s0, _ZL13kvalues_mxfp4@rel32@lo+12
	s_wait_alu 0xfffe
	s_add_co_ci_u32 s1, s1, _ZL13kvalues_mxfp4@rel32@hi+24
	v_add_co_u32 v2, vcc_lo, v0, v5
	s_delay_alu instid0(VALU_DEP_1)
	v_add_co_ci_u32_e64 v3, null, 0, v1, vcc_lo
	s_clause 0x1
	global_load_b32 v2, v[2:3], off offset:1
	global_load_u8 v0, v[0:1], off
	s_wait_loadcnt 0x1
	v_bfe_u32 v3, v2, 4, 4
	s_wait_loadcnt 0x0
	v_lshlrev_b32_e32 v11, 23, v0
	v_cmp_ne_u32_e32 vcc_lo, 0, v0
	v_and_b32_e32 v1, 15, v2
	v_bfe_u32 v6, v2, 8, 4
	v_bfe_u32 v7, v2, 12, 4
	;; [unrolled: 1-line block ×5, first 2 shown]
	v_lshrrev_b32_e32 v2, 28, v2
	s_wait_alu 0xfffd
	v_cndmask_b32_e32 v0, 0x400000, v11, vcc_lo
	s_clause 0x7
	global_load_i8 v1, v1, s[0:1]
	global_load_i8 v3, v3, s[0:1]
	;; [unrolled: 1-line block ×8, first 2 shown]
	s_lshl_b64 s[0:1], s[4:5], 9
	s_wait_alu 0xfffe
	s_add_nc_u64 s[0:1], s[2:3], s[0:1]
	s_wait_loadcnt 0x7
	v_cvt_f32_i32_e32 v1, v1
	s_wait_loadcnt 0x6
	v_cvt_f32_i32_e32 v3, v3
	;; [unrolled: 2-line block ×6, first 2 shown]
	v_dual_mul_f32 v1, v0, v1 :: v_dual_lshlrev_b32 v4, 6, v4
	v_mul_f32_e32 v3, v0, v3
	s_wait_loadcnt 0x1
	v_cvt_f32_i32_e32 v10, v10
	s_wait_loadcnt 0x0
	v_cvt_f32_i32_e32 v2, v2
	v_mul_f32_e32 v8, v0, v8
	v_mul_f32_e32 v9, v0, v9
	v_dual_mul_f32 v6, v0, v6 :: v_dual_lshlrev_b32 v5, 1, v5
	s_wait_alu 0xfffe
	v_add_co_u32 v4, s0, s0, v4
	s_wait_alu 0xf1ff
	v_add_co_ci_u32_e64 v12, null, s1, 0, s0
	v_mul_f32_e32 v7, v0, v7
	v_mul_f32_e32 v10, v0, v10
	;; [unrolled: 1-line block ×3, first 2 shown]
	v_fma_mixlo_f16 v0, v1, s6, 0
	v_fma_mixlo_f16 v1, v8, s6, 0
	;; [unrolled: 1-line block ×4, first 2 shown]
	v_add_co_u32 v4, vcc_lo, v4, v5
	s_wait_alu 0xfffd
	v_add_co_ci_u32_e64 v5, null, 0, v12, vcc_lo
	v_fma_mixhi_f16 v1, v10, s6, 0
	v_fma_mixhi_f16 v0, v6, s6, 0
	;; [unrolled: 1-line block ×4, first 2 shown]
	s_clause 0x1
	global_store_b64 v[4:5], v[0:1], off
	global_store_b64 v[4:5], v[2:3], off offset:32
	s_endpgm
	.section	.rodata,"a",@progbits
	.p2align	6, 0x0
	.amdhsa_kernel _ZL22dequantize_block_mxfp4I6__halfEvPKvPT_
		.amdhsa_group_segment_fixed_size 0
		.amdhsa_private_segment_fixed_size 0
		.amdhsa_kernarg_size 16
		.amdhsa_user_sgpr_count 2
		.amdhsa_user_sgpr_dispatch_ptr 0
		.amdhsa_user_sgpr_queue_ptr 0
		.amdhsa_user_sgpr_kernarg_segment_ptr 1
		.amdhsa_user_sgpr_dispatch_id 0
		.amdhsa_user_sgpr_private_segment_size 0
		.amdhsa_wavefront_size32 1
		.amdhsa_uses_dynamic_stack 0
		.amdhsa_enable_private_segment 0
		.amdhsa_system_sgpr_workgroup_id_x 1
		.amdhsa_system_sgpr_workgroup_id_y 0
		.amdhsa_system_sgpr_workgroup_id_z 0
		.amdhsa_system_sgpr_workgroup_info 0
		.amdhsa_system_vgpr_workitem_id 0
		.amdhsa_next_free_vgpr 13
		.amdhsa_next_free_sgpr 8
		.amdhsa_reserve_vcc 1
		.amdhsa_float_round_mode_32 0
		.amdhsa_float_round_mode_16_64 0
		.amdhsa_float_denorm_mode_32 3
		.amdhsa_float_denorm_mode_16_64 3
		.amdhsa_fp16_overflow 0
		.amdhsa_workgroup_processor_mode 1
		.amdhsa_memory_ordered 1
		.amdhsa_forward_progress 1
		.amdhsa_inst_pref_size 5
		.amdhsa_round_robin_scheduling 0
		.amdhsa_exception_fp_ieee_invalid_op 0
		.amdhsa_exception_fp_denorm_src 0
		.amdhsa_exception_fp_ieee_div_zero 0
		.amdhsa_exception_fp_ieee_overflow 0
		.amdhsa_exception_fp_ieee_underflow 0
		.amdhsa_exception_fp_ieee_inexact 0
		.amdhsa_exception_int_div_zero 0
	.end_amdhsa_kernel
	.section	.text._ZL22dequantize_block_mxfp4I6__halfEvPKvPT_,"axG",@progbits,_ZL22dequantize_block_mxfp4I6__halfEvPKvPT_,comdat
.Lfunc_end18:
	.size	_ZL22dequantize_block_mxfp4I6__halfEvPKvPT_, .Lfunc_end18-_ZL22dequantize_block_mxfp4I6__halfEvPKvPT_
                                        ; -- End function
	.set _ZL22dequantize_block_mxfp4I6__halfEvPKvPT_.num_vgpr, 13
	.set _ZL22dequantize_block_mxfp4I6__halfEvPKvPT_.num_agpr, 0
	.set _ZL22dequantize_block_mxfp4I6__halfEvPKvPT_.numbered_sgpr, 8
	.set _ZL22dequantize_block_mxfp4I6__halfEvPKvPT_.num_named_barrier, 0
	.set _ZL22dequantize_block_mxfp4I6__halfEvPKvPT_.private_seg_size, 0
	.set _ZL22dequantize_block_mxfp4I6__halfEvPKvPT_.uses_vcc, 1
	.set _ZL22dequantize_block_mxfp4I6__halfEvPKvPT_.uses_flat_scratch, 0
	.set _ZL22dequantize_block_mxfp4I6__halfEvPKvPT_.has_dyn_sized_stack, 0
	.set _ZL22dequantize_block_mxfp4I6__halfEvPKvPT_.has_recursion, 0
	.set _ZL22dequantize_block_mxfp4I6__halfEvPKvPT_.has_indirect_call, 0
	.section	.AMDGPU.csdata,"",@progbits
; Kernel info:
; codeLenInByte = 584
; TotalNumSgprs: 10
; NumVgprs: 13
; ScratchSize: 0
; MemoryBound: 0
; FloatMode: 240
; IeeeMode: 1
; LDSByteSize: 0 bytes/workgroup (compile time only)
; SGPRBlocks: 0
; VGPRBlocks: 1
; NumSGPRsForWavesPerEU: 10
; NumVGPRsForWavesPerEU: 13
; Occupancy: 16
; WaveLimiterHint : 0
; COMPUTE_PGM_RSRC2:SCRATCH_EN: 0
; COMPUTE_PGM_RSRC2:USER_SGPR: 2
; COMPUTE_PGM_RSRC2:TRAP_HANDLER: 0
; COMPUTE_PGM_RSRC2:TGID_X_EN: 1
; COMPUTE_PGM_RSRC2:TGID_Y_EN: 0
; COMPUTE_PGM_RSRC2:TGID_Z_EN: 0
; COMPUTE_PGM_RSRC2:TIDIG_COMP_CNT: 0
	.section	.text._ZL22dequantize_block_nvfp4I6__halfEvPKvPT_l,"axG",@progbits,_ZL22dequantize_block_nvfp4I6__halfEvPKvPT_l,comdat
	.globl	_ZL22dequantize_block_nvfp4I6__halfEvPKvPT_l ; -- Begin function _ZL22dequantize_block_nvfp4I6__halfEvPKvPT_l
	.p2align	8
	.type	_ZL22dequantize_block_nvfp4I6__halfEvPKvPT_l,@function
_ZL22dequantize_block_nvfp4I6__halfEvPKvPT_l: ; @_ZL22dequantize_block_nvfp4I6__halfEvPKvPT_l
; %bb.0:
	s_load_b64 s[4:5], s[0:1], 0x10
	s_mov_b32 s6, ttmp9
	s_mov_b32 s7, 0
	s_delay_alu instid0(SALU_CYCLE_1)
	s_lshl_b64 s[2:3], s[6:7], 6
	s_wait_kmcnt 0x0
	v_cmp_ge_i64_e64 s4, s[2:3], s[4:5]
	s_and_b32 vcc_lo, exec_lo, s4
	s_cbranch_vccnz .LBB19_8
; %bb.1:
	s_load_b64 s[4:5], s[0:1], 0x0
	v_lshrrev_b32_e32 v1, 3, v0
	s_mul_u64 s[8:9], s[6:7], 36
	s_mov_b32 s6, exec_lo
	s_wait_kmcnt 0x0
	s_add_nc_u64 s[4:5], s[4:5], s[8:9]
	global_load_u8 v3, v1, s[4:5]
	s_wait_loadcnt 0x0
	v_cmpx_lt_i16_e32 0x7e, v3
	s_xor_b32 s6, exec_lo, s6
; %bb.2:
	v_cmp_ne_u16_e32 vcc_lo, 0x7f, v3
	s_and_b32 s7, vcc_lo, exec_lo
; %bb.3:
	s_and_not1_saveexec_b32 s6, s6
; %bb.4:
	v_cmp_ne_u16_e32 vcc_lo, 0, v3
	s_and_not1_b32 s7, s7, exec_lo
	s_and_b32 s8, vcc_lo, exec_lo
	s_delay_alu instid0(SALU_CYCLE_1)
	s_or_b32 s7, s7, s8
; %bb.5:
	s_or_b32 exec_lo, exec_lo, s6
	s_load_b64 s[0:1], s[0:1], 0x8
	v_mov_b32_e32 v2, 0
	s_and_saveexec_b32 s6, s7
	s_cbranch_execz .LBB19_7
; %bb.6:
	v_and_b32_e32 v2, 0xffff, v3
	s_delay_alu instid0(VALU_DEP_1) | instskip(SKIP_1) | instid1(VALU_DEP_2)
	v_dual_mov_b32 v4, 1.0 :: v_dual_and_b32 v3, 7, v2
	v_bfe_u32 v2, v2, 3, 4
	v_cvt_f32_ubyte0_e32 v3, v3
	s_delay_alu instid0(VALU_DEP_2) | instskip(SKIP_1) | instid1(VALU_DEP_3)
	v_add_nc_u32_e32 v5, -7, v2
	v_cmp_eq_u32_e32 vcc_lo, 0, v2
	v_fmamk_f32 v4, v3, 0x3e000000, v4
	s_delay_alu instid0(VALU_DEP_1) | instskip(NEXT) | instid1(VALU_DEP_4)
	v_cndmask_b32_e32 v2, v4, v3, vcc_lo
	v_cndmask_b32_e64 v3, v5, -9, vcc_lo
	s_delay_alu instid0(VALU_DEP_1) | instskip(NEXT) | instid1(VALU_DEP_1)
	v_ldexp_f32 v2, v2, v3
	v_mul_f32_e32 v2, 0.5, v2
.LBB19_7:
	s_or_b32 exec_lo, exec_lo, s6
	global_load_u8 v5, v0, s[4:5] offset:4
	s_getpc_b64 s[4:5]
	s_wait_alu 0xfffe
	s_sext_i32_i16 s5, s5
	s_add_co_u32 s4, s4, _ZL13kvalues_mxfp4@rel32@lo+12
	s_wait_alu 0xfffe
	s_add_co_ci_u32 s5, s5, _ZL13kvalues_mxfp4@rel32@hi+24
	v_and_b32_e32 v0, 7, v0
	v_lshlrev_b32_e32 v1, 5, v1
	s_lshl_b64 s[2:3], s[2:3], 1
	s_wait_kmcnt 0x0
	s_wait_alu 0xfffe
	s_add_nc_u64 s[0:1], s[0:1], s[2:3]
	v_lshlrev_b32_e32 v0, 1, v0
	v_add_co_u32 v1, s0, s0, v1
	s_delay_alu instid0(VALU_DEP_1) | instskip(SKIP_3) | instid1(VALU_DEP_2)
	v_add_co_u32 v0, vcc_lo, v1, v0
	s_wait_loadcnt 0x0
	v_and_b32_e32 v3, 15, v5
	v_lshrrev_b32_e32 v5, 4, v5
	v_add_co_u32 v3, s6, s4, v3
	s_delay_alu instid0(VALU_DEP_1)
	v_add_co_ci_u32_e64 v4, null, s5, 0, s6
	s_clause 0x1
	global_load_i8 v3, v[3:4], off
	global_load_i8 v4, v5, s[4:5]
	s_wait_alu 0xf1ff
	v_add_co_ci_u32_e64 v5, null, s1, 0, s0
	s_wait_alu 0xfffd
	s_delay_alu instid0(VALU_DEP_1) | instskip(SKIP_4) | instid1(VALU_DEP_2)
	v_add_co_ci_u32_e64 v1, null, 0, v5, vcc_lo
	s_wait_loadcnt 0x1
	v_cvt_f32_i32_e32 v3, v3
	s_wait_loadcnt 0x0
	v_cvt_f32_i32_e32 v4, v4
	v_fma_mixlo_f16 v3, v2, v3, 0
	s_delay_alu instid0(VALU_DEP_2)
	v_fma_mixlo_f16 v2, v2, v4, 0
	s_clause 0x1
	global_store_b16 v[0:1], v3, off
	global_store_b16 v[0:1], v2, off offset:16
.LBB19_8:
	s_endpgm
	.section	.rodata,"a",@progbits
	.p2align	6, 0x0
	.amdhsa_kernel _ZL22dequantize_block_nvfp4I6__halfEvPKvPT_l
		.amdhsa_group_segment_fixed_size 0
		.amdhsa_private_segment_fixed_size 0
		.amdhsa_kernarg_size 24
		.amdhsa_user_sgpr_count 2
		.amdhsa_user_sgpr_dispatch_ptr 0
		.amdhsa_user_sgpr_queue_ptr 0
		.amdhsa_user_sgpr_kernarg_segment_ptr 1
		.amdhsa_user_sgpr_dispatch_id 0
		.amdhsa_user_sgpr_private_segment_size 0
		.amdhsa_wavefront_size32 1
		.amdhsa_uses_dynamic_stack 0
		.amdhsa_enable_private_segment 0
		.amdhsa_system_sgpr_workgroup_id_x 1
		.amdhsa_system_sgpr_workgroup_id_y 0
		.amdhsa_system_sgpr_workgroup_id_z 0
		.amdhsa_system_sgpr_workgroup_info 0
		.amdhsa_system_vgpr_workitem_id 0
		.amdhsa_next_free_vgpr 6
		.amdhsa_next_free_sgpr 10
		.amdhsa_reserve_vcc 1
		.amdhsa_float_round_mode_32 0
		.amdhsa_float_round_mode_16_64 0
		.amdhsa_float_denorm_mode_32 3
		.amdhsa_float_denorm_mode_16_64 3
		.amdhsa_fp16_overflow 0
		.amdhsa_workgroup_processor_mode 1
		.amdhsa_memory_ordered 1
		.amdhsa_forward_progress 1
		.amdhsa_inst_pref_size 4
		.amdhsa_round_robin_scheduling 0
		.amdhsa_exception_fp_ieee_invalid_op 0
		.amdhsa_exception_fp_denorm_src 0
		.amdhsa_exception_fp_ieee_div_zero 0
		.amdhsa_exception_fp_ieee_overflow 0
		.amdhsa_exception_fp_ieee_underflow 0
		.amdhsa_exception_fp_ieee_inexact 0
		.amdhsa_exception_int_div_zero 0
	.end_amdhsa_kernel
	.section	.text._ZL22dequantize_block_nvfp4I6__halfEvPKvPT_l,"axG",@progbits,_ZL22dequantize_block_nvfp4I6__halfEvPKvPT_l,comdat
.Lfunc_end19:
	.size	_ZL22dequantize_block_nvfp4I6__halfEvPKvPT_l, .Lfunc_end19-_ZL22dequantize_block_nvfp4I6__halfEvPKvPT_l
                                        ; -- End function
	.set _ZL22dequantize_block_nvfp4I6__halfEvPKvPT_l.num_vgpr, 6
	.set _ZL22dequantize_block_nvfp4I6__halfEvPKvPT_l.num_agpr, 0
	.set _ZL22dequantize_block_nvfp4I6__halfEvPKvPT_l.numbered_sgpr, 10
	.set _ZL22dequantize_block_nvfp4I6__halfEvPKvPT_l.num_named_barrier, 0
	.set _ZL22dequantize_block_nvfp4I6__halfEvPKvPT_l.private_seg_size, 0
	.set _ZL22dequantize_block_nvfp4I6__halfEvPKvPT_l.uses_vcc, 1
	.set _ZL22dequantize_block_nvfp4I6__halfEvPKvPT_l.uses_flat_scratch, 0
	.set _ZL22dequantize_block_nvfp4I6__halfEvPKvPT_l.has_dyn_sized_stack, 0
	.set _ZL22dequantize_block_nvfp4I6__halfEvPKvPT_l.has_recursion, 0
	.set _ZL22dequantize_block_nvfp4I6__halfEvPKvPT_l.has_indirect_call, 0
	.section	.AMDGPU.csdata,"",@progbits
; Kernel info:
; codeLenInByte = 496
; TotalNumSgprs: 12
; NumVgprs: 6
; ScratchSize: 0
; MemoryBound: 0
; FloatMode: 240
; IeeeMode: 1
; LDSByteSize: 0 bytes/workgroup (compile time only)
; SGPRBlocks: 0
; VGPRBlocks: 0
; NumSGPRsForWavesPerEU: 12
; NumVGPRsForWavesPerEU: 6
; Occupancy: 16
; WaveLimiterHint : 0
; COMPUTE_PGM_RSRC2:SCRATCH_EN: 0
; COMPUTE_PGM_RSRC2:USER_SGPR: 2
; COMPUTE_PGM_RSRC2:TRAP_HANDLER: 0
; COMPUTE_PGM_RSRC2:TGID_X_EN: 1
; COMPUTE_PGM_RSRC2:TGID_Y_EN: 0
; COMPUTE_PGM_RSRC2:TGID_Z_EN: 0
; COMPUTE_PGM_RSRC2:TIDIG_COMP_CNT: 0
	.section	.text._ZL21dequantize_block_q4_0IfEvPKvPT_i,"axG",@progbits,_ZL21dequantize_block_q4_0IfEvPKvPT_i,comdat
	.globl	_ZL21dequantize_block_q4_0IfEvPKvPT_i ; -- Begin function _ZL21dequantize_block_q4_0IfEvPKvPT_i
	.p2align	8
	.type	_ZL21dequantize_block_q4_0IfEvPKvPT_i,@function
_ZL21dequantize_block_q4_0IfEvPKvPT_i:  ; @_ZL21dequantize_block_q4_0IfEvPKvPT_i
; %bb.0:
	s_load_b32 s4, s[0:1], 0x10
	s_mov_b32 s2, ttmp9
	s_mov_b32 s3, 0
	s_delay_alu instid0(SALU_CYCLE_1) | instskip(NEXT) | instid1(SALU_CYCLE_1)
	s_lshl_b64 s[6:7], s[2:3], 3
	v_dual_mov_b32 v2, s7 :: v_dual_and_b32 v3, 7, v0
	s_delay_alu instid0(VALU_DEP_1)
	v_or_b32_e32 v1, s6, v3
	s_wait_kmcnt 0x0
	s_ashr_i32 s5, s4, 31
	s_delay_alu instid0(VALU_DEP_1) | instid1(SALU_CYCLE_1)
	v_cmp_gt_i64_e32 vcc_lo, s[4:5], v[1:2]
	s_and_saveexec_b32 s4, vcc_lo
	s_cbranch_execz .LBB20_2
; %bb.1:
	s_load_b128 s[4:7], s[0:1], 0x0
	v_lshrrev_b32_e32 v0, 1, v0
	s_lshl_b64 s[0:1], s[2:3], 10
	s_wait_kmcnt 0x0
	v_mad_co_u64_u32 v[4:5], null, v1, 18, s[4:5]
	s_add_nc_u64 s[0:1], s[6:7], s[0:1]
	v_mad_u32_u24 v5, v2, 18, v5
	v_and_b32_e32 v2, 0x1fc, v0
	global_load_u16 v7, v[4:5], off
	v_add_co_u32 v0, vcc_lo, v4, v2
	s_delay_alu instid0(VALU_DEP_1) | instskip(SKIP_4) | instid1(VALU_DEP_1)
	v_add_co_ci_u32_e64 v1, null, 0, v5, vcc_lo
	v_lshlrev_b32_e32 v2, 2, v2
	global_load_b32 v0, v[0:1], off offset:2
	s_wait_loadcnt 0x1
	v_cvt_f32_f16_e32 v4, v7
	v_dual_mul_f32 v10, 0xc1000000, v4 :: v_dual_lshlrev_b32 v1, 7, v3
	s_delay_alu instid0(VALU_DEP_1)
	v_add_co_u32 v1, s0, s0, v1
	s_wait_alu 0xf1ff
	v_add_co_ci_u32_e64 v3, null, s1, 0, s0
	s_wait_loadcnt 0x0
	v_lshrrev_b16 v4, 4, v0
	v_add_co_u32 v8, vcc_lo, v1, v2
	v_lshrrev_b32_e32 v1, 8, v0
	v_lshrrev_b32_e32 v2, 24, v0
	v_bfe_u32 v5, v0, 8, 4
	s_wait_alu 0xfffd
	v_add_co_ci_u32_e64 v9, null, 0, v3, vcc_lo
	v_lshrrev_b16 v1, 4, v1
	v_and_b32_e32 v3, 15, v0
	v_bfe_u32 v6, v0, 16, 4
	v_bfe_u32 v11, v0, 20, 4
	;; [unrolled: 1-line block ×3, first 2 shown]
	v_and_b32_e32 v4, 15, v4
	v_cvt_f32_ubyte0_e32 v5, v5
	v_lshrrev_b16 v13, 4, v2
	v_and_b32_e32 v14, 15, v1
	v_cvt_f32_ubyte0_e32 v3, v3
	v_cvt_f32_ubyte0_e32 v6, v6
	;; [unrolled: 1-line block ×5, first 2 shown]
	v_fma_mix_f32 v1, v7, v5, v10 op_sel_hi:[1,0,0]
	v_cvt_f32_ubyte0_e32 v5, v14
	v_cvt_f32_ubyte0_e32 v13, v13
	v_fma_mix_f32 v0, v7, v3, v10 op_sel_hi:[1,0,0]
	v_fma_mix_f32 v2, v7, v6, v10 op_sel_hi:[1,0,0]
	;; [unrolled: 1-line block ×7, first 2 shown]
	s_clause 0x1
	global_store_b128 v[8:9], v[0:3], off
	global_store_b128 v[8:9], v[4:7], off offset:64
.LBB20_2:
	s_endpgm
	.section	.rodata,"a",@progbits
	.p2align	6, 0x0
	.amdhsa_kernel _ZL21dequantize_block_q4_0IfEvPKvPT_i
		.amdhsa_group_segment_fixed_size 0
		.amdhsa_private_segment_fixed_size 0
		.amdhsa_kernarg_size 20
		.amdhsa_user_sgpr_count 2
		.amdhsa_user_sgpr_dispatch_ptr 0
		.amdhsa_user_sgpr_queue_ptr 0
		.amdhsa_user_sgpr_kernarg_segment_ptr 1
		.amdhsa_user_sgpr_dispatch_id 0
		.amdhsa_user_sgpr_private_segment_size 0
		.amdhsa_wavefront_size32 1
		.amdhsa_uses_dynamic_stack 0
		.amdhsa_enable_private_segment 0
		.amdhsa_system_sgpr_workgroup_id_x 1
		.amdhsa_system_sgpr_workgroup_id_y 0
		.amdhsa_system_sgpr_workgroup_id_z 0
		.amdhsa_system_sgpr_workgroup_info 0
		.amdhsa_system_vgpr_workitem_id 0
		.amdhsa_next_free_vgpr 15
		.amdhsa_next_free_sgpr 8
		.amdhsa_reserve_vcc 1
		.amdhsa_float_round_mode_32 0
		.amdhsa_float_round_mode_16_64 0
		.amdhsa_float_denorm_mode_32 3
		.amdhsa_float_denorm_mode_16_64 3
		.amdhsa_fp16_overflow 0
		.amdhsa_workgroup_processor_mode 1
		.amdhsa_memory_ordered 1
		.amdhsa_forward_progress 1
		.amdhsa_inst_pref_size 4
		.amdhsa_round_robin_scheduling 0
		.amdhsa_exception_fp_ieee_invalid_op 0
		.amdhsa_exception_fp_denorm_src 0
		.amdhsa_exception_fp_ieee_div_zero 0
		.amdhsa_exception_fp_ieee_overflow 0
		.amdhsa_exception_fp_ieee_underflow 0
		.amdhsa_exception_fp_ieee_inexact 0
		.amdhsa_exception_int_div_zero 0
	.end_amdhsa_kernel
	.section	.text._ZL21dequantize_block_q4_0IfEvPKvPT_i,"axG",@progbits,_ZL21dequantize_block_q4_0IfEvPKvPT_i,comdat
.Lfunc_end20:
	.size	_ZL21dequantize_block_q4_0IfEvPKvPT_i, .Lfunc_end20-_ZL21dequantize_block_q4_0IfEvPKvPT_i
                                        ; -- End function
	.set _ZL21dequantize_block_q4_0IfEvPKvPT_i.num_vgpr, 15
	.set _ZL21dequantize_block_q4_0IfEvPKvPT_i.num_agpr, 0
	.set _ZL21dequantize_block_q4_0IfEvPKvPT_i.numbered_sgpr, 8
	.set _ZL21dequantize_block_q4_0IfEvPKvPT_i.num_named_barrier, 0
	.set _ZL21dequantize_block_q4_0IfEvPKvPT_i.private_seg_size, 0
	.set _ZL21dequantize_block_q4_0IfEvPKvPT_i.uses_vcc, 1
	.set _ZL21dequantize_block_q4_0IfEvPKvPT_i.uses_flat_scratch, 0
	.set _ZL21dequantize_block_q4_0IfEvPKvPT_i.has_dyn_sized_stack, 0
	.set _ZL21dequantize_block_q4_0IfEvPKvPT_i.has_recursion, 0
	.set _ZL21dequantize_block_q4_0IfEvPKvPT_i.has_indirect_call, 0
	.section	.AMDGPU.csdata,"",@progbits
; Kernel info:
; codeLenInByte = 432
; TotalNumSgprs: 10
; NumVgprs: 15
; ScratchSize: 0
; MemoryBound: 0
; FloatMode: 240
; IeeeMode: 1
; LDSByteSize: 0 bytes/workgroup (compile time only)
; SGPRBlocks: 0
; VGPRBlocks: 1
; NumSGPRsForWavesPerEU: 10
; NumVGPRsForWavesPerEU: 15
; Occupancy: 16
; WaveLimiterHint : 0
; COMPUTE_PGM_RSRC2:SCRATCH_EN: 0
; COMPUTE_PGM_RSRC2:USER_SGPR: 2
; COMPUTE_PGM_RSRC2:TRAP_HANDLER: 0
; COMPUTE_PGM_RSRC2:TGID_X_EN: 1
; COMPUTE_PGM_RSRC2:TGID_Y_EN: 0
; COMPUTE_PGM_RSRC2:TGID_Z_EN: 0
; COMPUTE_PGM_RSRC2:TIDIG_COMP_CNT: 0
	.section	.text._ZL21dequantize_block_q4_1IfEvPKvPT_i,"axG",@progbits,_ZL21dequantize_block_q4_1IfEvPKvPT_i,comdat
	.globl	_ZL21dequantize_block_q4_1IfEvPKvPT_i ; -- Begin function _ZL21dequantize_block_q4_1IfEvPKvPT_i
	.p2align	8
	.type	_ZL21dequantize_block_q4_1IfEvPKvPT_i,@function
_ZL21dequantize_block_q4_1IfEvPKvPT_i:  ; @_ZL21dequantize_block_q4_1IfEvPKvPT_i
; %bb.0:
	s_load_b32 s4, s[0:1], 0x10
	s_mov_b32 s2, ttmp9
	s_mov_b32 s3, 0
	s_delay_alu instid0(SALU_CYCLE_1) | instskip(NEXT) | instid1(SALU_CYCLE_1)
	s_lshl_b64 s[6:7], s[2:3], 3
	v_dual_mov_b32 v2, s7 :: v_dual_and_b32 v3, 7, v0
	s_delay_alu instid0(VALU_DEP_1)
	v_or_b32_e32 v1, s6, v3
	s_wait_kmcnt 0x0
	s_ashr_i32 s5, s4, 31
	s_delay_alu instid0(VALU_DEP_1) | instid1(SALU_CYCLE_1)
	v_cmp_gt_i64_e32 vcc_lo, s[4:5], v[1:2]
	s_and_saveexec_b32 s4, vcc_lo
	s_cbranch_execz .LBB21_2
; %bb.1:
	s_load_b128 s[4:7], s[0:1], 0x0
	v_lshrrev_b32_e32 v0, 1, v0
	s_lshl_b64 s[0:1], s[2:3], 10
	s_delay_alu instid0(VALU_DEP_1)
	v_and_b32_e32 v6, 0x1fc, v0
	s_wait_kmcnt 0x0
	v_mad_co_u64_u32 v[4:5], null, v1, 20, s[4:5]
	s_add_nc_u64 s[0:1], s[6:7], s[0:1]
	v_mad_u32_u24 v5, v2, 20, v5
	v_add_co_u32 v0, vcc_lo, v4, v6
	v_lshlrev_b32_e32 v2, 2, v6
	s_delay_alu instid0(VALU_DEP_3) | instskip(SKIP_4) | instid1(VALU_DEP_1)
	v_add_co_ci_u32_e64 v1, null, 0, v5, vcc_lo
	s_clause 0x1
	global_load_b32 v0, v[0:1], off offset:4
	global_load_b32 v7, v[4:5], off
	v_lshlrev_b32_e32 v1, 7, v3
	v_add_co_u32 v1, s0, s0, v1
	s_wait_alu 0xf1ff
	v_add_co_ci_u32_e64 v3, null, s1, 0, s0
	s_delay_alu instid0(VALU_DEP_2) | instskip(SKIP_1) | instid1(VALU_DEP_2)
	v_add_co_u32 v8, vcc_lo, v1, v2
	s_wait_alu 0xfffd
	v_add_co_ci_u32_e64 v9, null, 0, v3, vcc_lo
	s_wait_loadcnt 0x1
	v_lshrrev_b32_e32 v1, 8, v0
	v_lshrrev_b32_e32 v2, 24, v0
	v_lshrrev_b16 v4, 4, v0
	v_bfe_u32 v5, v0, 8, 4
	v_and_b32_e32 v3, 15, v0
	v_lshrrev_b16 v1, 4, v1
	v_bfe_u32 v6, v0, 16, 4
	v_bfe_u32 v10, v0, 20, 4
	;; [unrolled: 1-line block ×3, first 2 shown]
	v_and_b32_e32 v4, 15, v4
	v_cvt_f32_ubyte0_e32 v5, v5
	v_lshrrev_b16 v12, 4, v2
	v_and_b32_e32 v13, 15, v1
	v_cvt_f32_ubyte0_e32 v3, v3
	v_cvt_f32_ubyte0_e32 v6, v6
	;; [unrolled: 1-line block ×5, first 2 shown]
	s_wait_loadcnt 0x0
	v_fma_mix_f32 v1, v7, v5, v7 op_sel:[0,0,1] op_sel_hi:[1,0,1]
	v_cvt_f32_ubyte0_e32 v5, v13
	v_cvt_f32_ubyte0_e32 v12, v12
	v_fma_mix_f32 v0, v7, v3, v7 op_sel:[0,0,1] op_sel_hi:[1,0,1]
	v_fma_mix_f32 v2, v7, v6, v7 op_sel:[0,0,1] op_sel_hi:[1,0,1]
	;; [unrolled: 1-line block ×7, first 2 shown]
	s_clause 0x1
	global_store_b128 v[8:9], v[0:3], off
	global_store_b128 v[8:9], v[4:7], off offset:64
.LBB21_2:
	s_endpgm
	.section	.rodata,"a",@progbits
	.p2align	6, 0x0
	.amdhsa_kernel _ZL21dequantize_block_q4_1IfEvPKvPT_i
		.amdhsa_group_segment_fixed_size 0
		.amdhsa_private_segment_fixed_size 0
		.amdhsa_kernarg_size 20
		.amdhsa_user_sgpr_count 2
		.amdhsa_user_sgpr_dispatch_ptr 0
		.amdhsa_user_sgpr_queue_ptr 0
		.amdhsa_user_sgpr_kernarg_segment_ptr 1
		.amdhsa_user_sgpr_dispatch_id 0
		.amdhsa_user_sgpr_private_segment_size 0
		.amdhsa_wavefront_size32 1
		.amdhsa_uses_dynamic_stack 0
		.amdhsa_enable_private_segment 0
		.amdhsa_system_sgpr_workgroup_id_x 1
		.amdhsa_system_sgpr_workgroup_id_y 0
		.amdhsa_system_sgpr_workgroup_id_z 0
		.amdhsa_system_sgpr_workgroup_info 0
		.amdhsa_system_vgpr_workitem_id 0
		.amdhsa_next_free_vgpr 14
		.amdhsa_next_free_sgpr 8
		.amdhsa_reserve_vcc 1
		.amdhsa_float_round_mode_32 0
		.amdhsa_float_round_mode_16_64 0
		.amdhsa_float_denorm_mode_32 3
		.amdhsa_float_denorm_mode_16_64 3
		.amdhsa_fp16_overflow 0
		.amdhsa_workgroup_processor_mode 1
		.amdhsa_memory_ordered 1
		.amdhsa_forward_progress 1
		.amdhsa_inst_pref_size 4
		.amdhsa_round_robin_scheduling 0
		.amdhsa_exception_fp_ieee_invalid_op 0
		.amdhsa_exception_fp_denorm_src 0
		.amdhsa_exception_fp_ieee_div_zero 0
		.amdhsa_exception_fp_ieee_overflow 0
		.amdhsa_exception_fp_ieee_underflow 0
		.amdhsa_exception_fp_ieee_inexact 0
		.amdhsa_exception_int_div_zero 0
	.end_amdhsa_kernel
	.section	.text._ZL21dequantize_block_q4_1IfEvPKvPT_i,"axG",@progbits,_ZL21dequantize_block_q4_1IfEvPKvPT_i,comdat
.Lfunc_end21:
	.size	_ZL21dequantize_block_q4_1IfEvPKvPT_i, .Lfunc_end21-_ZL21dequantize_block_q4_1IfEvPKvPT_i
                                        ; -- End function
	.set _ZL21dequantize_block_q4_1IfEvPKvPT_i.num_vgpr, 14
	.set _ZL21dequantize_block_q4_1IfEvPKvPT_i.num_agpr, 0
	.set _ZL21dequantize_block_q4_1IfEvPKvPT_i.numbered_sgpr, 8
	.set _ZL21dequantize_block_q4_1IfEvPKvPT_i.num_named_barrier, 0
	.set _ZL21dequantize_block_q4_1IfEvPKvPT_i.private_seg_size, 0
	.set _ZL21dequantize_block_q4_1IfEvPKvPT_i.uses_vcc, 1
	.set _ZL21dequantize_block_q4_1IfEvPKvPT_i.uses_flat_scratch, 0
	.set _ZL21dequantize_block_q4_1IfEvPKvPT_i.has_dyn_sized_stack, 0
	.set _ZL21dequantize_block_q4_1IfEvPKvPT_i.has_recursion, 0
	.set _ZL21dequantize_block_q4_1IfEvPKvPT_i.has_indirect_call, 0
	.section	.AMDGPU.csdata,"",@progbits
; Kernel info:
; codeLenInByte = 428
; TotalNumSgprs: 10
; NumVgprs: 14
; ScratchSize: 0
; MemoryBound: 0
; FloatMode: 240
; IeeeMode: 1
; LDSByteSize: 0 bytes/workgroup (compile time only)
; SGPRBlocks: 0
; VGPRBlocks: 1
; NumSGPRsForWavesPerEU: 10
; NumVGPRsForWavesPerEU: 14
; Occupancy: 16
; WaveLimiterHint : 0
; COMPUTE_PGM_RSRC2:SCRATCH_EN: 0
; COMPUTE_PGM_RSRC2:USER_SGPR: 2
; COMPUTE_PGM_RSRC2:TRAP_HANDLER: 0
; COMPUTE_PGM_RSRC2:TGID_X_EN: 1
; COMPUTE_PGM_RSRC2:TGID_Y_EN: 0
; COMPUTE_PGM_RSRC2:TGID_Z_EN: 0
; COMPUTE_PGM_RSRC2:TIDIG_COMP_CNT: 0
	.section	.text._ZL21dequantize_block_q2_KIfEvPKvPT_,"axG",@progbits,_ZL21dequantize_block_q2_KIfEvPKvPT_,comdat
	.globl	_ZL21dequantize_block_q2_KIfEvPKvPT_ ; -- Begin function _ZL21dequantize_block_q2_KIfEvPKvPT_
	.p2align	8
	.type	_ZL21dequantize_block_q2_KIfEvPKvPT_,@function
_ZL21dequantize_block_q2_KIfEvPKvPT_:   ; @_ZL21dequantize_block_q2_KIfEvPKvPT_
; %bb.0:
	s_load_b128 s[0:3], s[0:1], 0x0
	v_lshrrev_b32_e32 v3, 5, v0
	s_mov_b32 s4, ttmp9
	s_mov_b32 s5, 0
	v_bfe_u32 v2, v0, 4, 1
	s_mul_u64 s[6:7], s[4:5], 0x54
	v_lshlrev_b32_e32 v1, 3, v3
	s_wait_kmcnt 0x0
	s_add_nc_u64 s[0:1], s[0:1], s[6:7]
	s_delay_alu instid0(VALU_DEP_1) | instid1(SALU_CYCLE_1)
	v_add_co_u32 v1, s6, s0, v1
	s_delay_alu instid0(VALU_DEP_1) | instskip(SKIP_2) | instid1(VALU_DEP_1)
	v_add_co_ci_u32_e64 v4, null, s1, 0, s6
	global_load_u8 v5, v0, s[0:1] offset:16
	v_add_co_u32 v1, vcc_lo, v1, v2
	v_add_co_ci_u32_e64 v2, null, 0, v4, vcc_lo
	s_clause 0x3
	global_load_u8 v4, v[1:2], off
	global_load_u8 v6, v[1:2], off offset:2
	global_load_u8 v7, v[1:2], off offset:4
	;; [unrolled: 1-line block ×3, first 2 shown]
	s_load_b32 s6, s[0:1], 0x50
	s_lshl_b64 s[0:1], s[4:5], 10
	s_wait_alu 0xfffe
	s_add_nc_u64 s[0:1], s[2:3], s[0:1]
	s_wait_loadcnt 0x4
	v_and_b32_e32 v8, 3, v5
	v_bfe_u32 v9, v5, 2, 2
	v_bfe_u32 v10, v5, 4, 2
	v_lshrrev_b32_e32 v5, 6, v5
	s_delay_alu instid0(VALU_DEP_4) | instskip(NEXT) | instid1(VALU_DEP_4)
	v_cvt_f32_ubyte0_e32 v8, v8
	v_cvt_f32_ubyte0_e32 v9, v9
	s_wait_loadcnt 0x1
	v_and_b32_e32 v13, 15, v7
	s_wait_loadcnt 0x0
	v_and_b32_e32 v14, 15, v1
	v_lshrrev_b32_e32 v1, 4, v1
	v_lshrrev_b32_e32 v7, 4, v7
	v_cvt_f32_ubyte0_e32 v10, v10
	v_cvt_f32_ubyte0_e32 v13, v13
	v_lshlrev_b32_e32 v2, 9, v3
	v_cvt_f32_ubyte0_e32 v1, v1
	v_cvt_f32_ubyte0_e32 v7, v7
	;; [unrolled: 1-line block ×4, first 2 shown]
	s_wait_alu 0xfffe
	v_add_co_u32 v2, s0, s0, v2
	s_wait_alu 0xf1ff
	v_add_co_ci_u32_e64 v3, null, s1, 0, s0
	s_wait_kmcnt 0x0
	s_cvt_hi_f32_f16 s1, s6
	v_and_b32_e32 v12, 15, v6
	v_lshrrev_b32_e32 v6, 4, v6
	s_cvt_f32_f16 s0, s6
	s_wait_alu 0xfffe
	v_mul_f32_e32 v15, s1, v1
	v_mul_f32_e32 v7, s1, v7
	v_cvt_f32_ubyte0_e32 v12, v12
	v_cvt_f32_ubyte0_e32 v6, v6
	v_and_b32_e32 v11, 15, v4
	v_lshrrev_b32_e32 v4, 4, v4
	s_delay_alu instid0(VALU_DEP_4) | instskip(NEXT) | instid1(VALU_DEP_4)
	v_dual_mul_f32 v13, s0, v13 :: v_dual_mul_f32 v12, s0, v12
	v_mul_f32_e32 v6, s1, v6
	s_delay_alu instid0(VALU_DEP_4) | instskip(SKIP_2) | instid1(VALU_DEP_3)
	v_cvt_f32_ubyte0_e32 v11, v11
	v_and_b32_e32 v0, 31, v0
	v_cvt_f32_ubyte0_e32 v4, v4
	v_dual_mul_f32 v14, s0, v14 :: v_dual_mul_f32 v11, s0, v11
	s_delay_alu instid0(VALU_DEP_3) | instskip(NEXT) | instid1(VALU_DEP_3)
	v_lshlrev_b32_e32 v0, 2, v0
	v_mul_f32_e32 v4, s1, v4
	s_delay_alu instid0(VALU_DEP_3) | instskip(NEXT) | instid1(VALU_DEP_3)
	v_fma_f32 v5, v14, v5, -v15
	v_add_co_u32 v0, vcc_lo, v2, v0
	s_wait_alu 0xfffd
	v_add_co_ci_u32_e64 v1, null, 0, v3, vcc_lo
	v_fma_f32 v2, v11, v8, -v4
	v_fma_f32 v3, v12, v9, -v6
	v_fma_f32 v4, v13, v10, -v7
	s_clause 0x3
	global_store_b32 v[0:1], v2, off
	global_store_b32 v[0:1], v3, off offset:128
	global_store_b32 v[0:1], v4, off offset:256
	;; [unrolled: 1-line block ×3, first 2 shown]
	s_endpgm
	.section	.rodata,"a",@progbits
	.p2align	6, 0x0
	.amdhsa_kernel _ZL21dequantize_block_q2_KIfEvPKvPT_
		.amdhsa_group_segment_fixed_size 0
		.amdhsa_private_segment_fixed_size 0
		.amdhsa_kernarg_size 16
		.amdhsa_user_sgpr_count 2
		.amdhsa_user_sgpr_dispatch_ptr 0
		.amdhsa_user_sgpr_queue_ptr 0
		.amdhsa_user_sgpr_kernarg_segment_ptr 1
		.amdhsa_user_sgpr_dispatch_id 0
		.amdhsa_user_sgpr_private_segment_size 0
		.amdhsa_wavefront_size32 1
		.amdhsa_uses_dynamic_stack 0
		.amdhsa_enable_private_segment 0
		.amdhsa_system_sgpr_workgroup_id_x 1
		.amdhsa_system_sgpr_workgroup_id_y 0
		.amdhsa_system_sgpr_workgroup_id_z 0
		.amdhsa_system_sgpr_workgroup_info 0
		.amdhsa_system_vgpr_workitem_id 0
		.amdhsa_next_free_vgpr 16
		.amdhsa_next_free_sgpr 8
		.amdhsa_reserve_vcc 1
		.amdhsa_float_round_mode_32 0
		.amdhsa_float_round_mode_16_64 0
		.amdhsa_float_denorm_mode_32 3
		.amdhsa_float_denorm_mode_16_64 3
		.amdhsa_fp16_overflow 0
		.amdhsa_workgroup_processor_mode 1
		.amdhsa_memory_ordered 1
		.amdhsa_forward_progress 1
		.amdhsa_inst_pref_size 4
		.amdhsa_round_robin_scheduling 0
		.amdhsa_exception_fp_ieee_invalid_op 0
		.amdhsa_exception_fp_denorm_src 0
		.amdhsa_exception_fp_ieee_div_zero 0
		.amdhsa_exception_fp_ieee_overflow 0
		.amdhsa_exception_fp_ieee_underflow 0
		.amdhsa_exception_fp_ieee_inexact 0
		.amdhsa_exception_int_div_zero 0
	.end_amdhsa_kernel
	.section	.text._ZL21dequantize_block_q2_KIfEvPKvPT_,"axG",@progbits,_ZL21dequantize_block_q2_KIfEvPKvPT_,comdat
.Lfunc_end22:
	.size	_ZL21dequantize_block_q2_KIfEvPKvPT_, .Lfunc_end22-_ZL21dequantize_block_q2_KIfEvPKvPT_
                                        ; -- End function
	.set _ZL21dequantize_block_q2_KIfEvPKvPT_.num_vgpr, 16
	.set _ZL21dequantize_block_q2_KIfEvPKvPT_.num_agpr, 0
	.set _ZL21dequantize_block_q2_KIfEvPKvPT_.numbered_sgpr, 8
	.set _ZL21dequantize_block_q2_KIfEvPKvPT_.num_named_barrier, 0
	.set _ZL21dequantize_block_q2_KIfEvPKvPT_.private_seg_size, 0
	.set _ZL21dequantize_block_q2_KIfEvPKvPT_.uses_vcc, 1
	.set _ZL21dequantize_block_q2_KIfEvPKvPT_.uses_flat_scratch, 0
	.set _ZL21dequantize_block_q2_KIfEvPKvPT_.has_dyn_sized_stack, 0
	.set _ZL21dequantize_block_q2_KIfEvPKvPT_.has_recursion, 0
	.set _ZL21dequantize_block_q2_KIfEvPKvPT_.has_indirect_call, 0
	.section	.AMDGPU.csdata,"",@progbits
; Kernel info:
; codeLenInByte = 500
; TotalNumSgprs: 10
; NumVgprs: 16
; ScratchSize: 0
; MemoryBound: 0
; FloatMode: 240
; IeeeMode: 1
; LDSByteSize: 0 bytes/workgroup (compile time only)
; SGPRBlocks: 0
; VGPRBlocks: 1
; NumSGPRsForWavesPerEU: 10
; NumVGPRsForWavesPerEU: 16
; Occupancy: 16
; WaveLimiterHint : 0
; COMPUTE_PGM_RSRC2:SCRATCH_EN: 0
; COMPUTE_PGM_RSRC2:USER_SGPR: 2
; COMPUTE_PGM_RSRC2:TRAP_HANDLER: 0
; COMPUTE_PGM_RSRC2:TGID_X_EN: 1
; COMPUTE_PGM_RSRC2:TGID_Y_EN: 0
; COMPUTE_PGM_RSRC2:TGID_Z_EN: 0
; COMPUTE_PGM_RSRC2:TIDIG_COMP_CNT: 0
	.section	.text._ZL21dequantize_block_q3_KIfEvPKvPT_,"axG",@progbits,_ZL21dequantize_block_q3_KIfEvPKvPT_,comdat
	.globl	_ZL21dequantize_block_q3_KIfEvPKvPT_ ; -- Begin function _ZL21dequantize_block_q3_KIfEvPKvPT_
	.p2align	8
	.type	_ZL21dequantize_block_q3_KIfEvPKvPT_,@function
_ZL21dequantize_block_q3_KIfEvPKvPT_:   ; @_ZL21dequantize_block_q3_KIfEvPKvPT_
; %bb.0:
	v_lshrrev_b32_e32 v9, 5, v0
	v_lshrrev_b32_e32 v10, 3, v0
	;; [unrolled: 1-line block ×3, first 2 shown]
	s_load_b64 s[4:5], s[0:1], 0x0
	v_bfe_u32 v11, v0, 2, 1
	v_lshlrev_b32_e32 v1, 2, v9
	s_mov_b32 s2, ttmp9
	v_and_b32_e32 v5, 0xf8, v5
	s_mov_b32 s8, exec_lo
                                        ; implicit-def: $vgpr12
	s_delay_alu instid0(VALU_DEP_2) | instskip(NEXT) | instid1(VALU_DEP_1)
	v_sub_co_u32 v3, s3, v10, v1
	v_sub_co_ci_u32_e64 v4, null, 0, 0, s3
	s_mov_b32 s3, 0
	s_wait_alu 0xfffe
	s_mul_u64 s[6:7], s[2:3], 0x6e
	v_lshlrev_b64_e32 v[1:2], 1, v[3:4]
	s_delay_alu instid0(VALU_DEP_1) | instskip(NEXT) | instid1(VALU_DEP_1)
	v_add_co_u32 v7, vcc_lo, v1, v5
	v_add_co_ci_u32_e64 v8, null, 0, v2, vcc_lo
                                        ; implicit-def: $vgpr2
	s_delay_alu instid0(VALU_DEP_2) | instskip(NEXT) | instid1(VALU_DEP_2)
	v_or_b32_e32 v5, v7, v11
	v_mov_b32_e32 v6, v8
	s_delay_alu instid0(VALU_DEP_1)
	v_cmpx_lt_i64_e32 3, v[5:6]
	s_xor_b32 s8, exec_lo, s8
	s_cbranch_execz .LBB23_10
; %bb.1:
	s_mov_b32 s9, exec_lo
                                        ; implicit-def: $vgpr12
                                        ; implicit-def: $vgpr2
	v_cmpx_lt_u64_e32 7, v[7:8]
	s_xor_b32 s9, exec_lo, s9
	s_cbranch_execz .LBB23_7
; %bb.2:
	s_wait_kmcnt 0x0
	s_add_nc_u64 s[10:11], s[4:5], s[6:7]
                                        ; implicit-def: $vgpr2
	s_delay_alu instid0(SALU_CYCLE_1)
	v_add_co_u32 v5, vcc_lo, s10, v5
	s_wait_alu 0xfffd
	v_add_co_ci_u32_e64 v6, null, s11, v6, vcc_lo
	s_mov_b32 s10, exec_lo
	global_load_u8 v12, v[5:6], off offset:88
	v_cmpx_lt_u64_e32 11, v[7:8]
	s_wait_alu 0xfffe
	s_xor_b32 s10, exec_lo, s10
	s_cbranch_execz .LBB23_4
; %bb.3:
	global_load_u8 v2, v[5:6], off offset:92
                                        ; implicit-def: $vgpr5_vgpr6
	s_wait_loadcnt 0x0
	v_lshrrev_b16 v2, 2, v2
.LBB23_4:
	s_wait_alu 0xfffe
	s_and_not1_saveexec_b32 s10, s10
	s_cbranch_execz .LBB23_6
; %bb.5:
	global_load_u8 v2, v[5:6], off offset:96
.LBB23_6:
	s_wait_alu 0xfffe
	s_or_b32 exec_lo, exec_lo, s10
	s_wait_loadcnt 0x0
	v_lshrrev_b16 v12, 4, v12
                                        ; implicit-def: $vgpr5_vgpr6
.LBB23_7:
	s_and_not1_saveexec_b32 s9, s9
	s_cbranch_execz .LBB23_9
; %bb.8:
	s_wait_kmcnt 0x0
	s_add_nc_u64 s[10:11], s[4:5], s[6:7]
	s_wait_alu 0xfffe
	v_add_co_u32 v5, vcc_lo, s10, v5
	s_wait_alu 0xfffd
	v_add_co_ci_u32_e64 v6, null, s11, v6, vcc_lo
	s_clause 0x1
	global_load_u8 v2, v[5:6], off offset:96
	global_load_u8 v5, v[5:6], off offset:100
	s_wait_loadcnt 0x1
	v_and_b32_e32 v12, 15, v2
	s_wait_loadcnt 0x0
	v_lshlrev_b16 v2, 2, v5
.LBB23_9:
	s_or_b32 exec_lo, exec_lo, s9
                                        ; implicit-def: $vgpr5_vgpr6
.LBB23_10:
	s_or_saveexec_b32 s10, s8
	s_load_b64 s[8:9], s[0:1], 0x8
	s_xor_b32 exec_lo, exec_lo, s10
	s_cbranch_execz .LBB23_12
; %bb.11:
	s_wait_kmcnt 0x0
	s_add_nc_u64 s[0:1], s[4:5], s[6:7]
	s_delay_alu instid0(SALU_CYCLE_1)
	v_add_co_u32 v5, vcc_lo, s0, v5
	s_wait_alu 0xfffd
	v_add_co_ci_u32_e64 v6, null, s1, v6, vcc_lo
	s_clause 0x1
	global_load_u8 v2, v[5:6], off offset:96
	global_load_u8 v5, v[5:6], off offset:104
	s_wait_loadcnt 0x1
	v_and_b32_e32 v12, 15, v2
	s_wait_loadcnt 0x0
	v_lshlrev_b16 v2, 4, v5
.LBB23_12:
	s_or_b32 exec_lo, exec_lo, s10
	v_lshlrev_b32_e32 v0, 2, v0
	v_lshlrev_b32_e32 v5, 5, v9
	s_wait_kmcnt 0x0
	s_add_nc_u64 s[0:1], s[4:5], s[6:7]
	s_lshl_b64 s[2:3], s[2:3], 10
	s_wait_alu 0xfffe
	s_add_nc_u64 s[2:3], s[8:9], s[2:3]
	v_and_b32_e32 v0, 12, v0
	s_delay_alu instid0(VALU_DEP_1) | instskip(SKIP_1) | instid1(VALU_DEP_1)
	v_lshl_or_b32 v7, v11, 4, v0
	v_add_co_u32 v0, s4, s0, v5
	v_add_co_ci_u32_e64 v6, null, s1, 0, s4
	s_delay_alu instid0(VALU_DEP_2) | instskip(SKIP_1) | instid1(VALU_DEP_2)
	v_add_co_u32 v5, vcc_lo, v0, v7
	s_wait_alu 0xfffd
	v_add_co_ci_u32_e64 v6, null, 0, v6, vcc_lo
	s_clause 0x1
	global_load_u8 v8, v7, s[0:1]
	global_load_u8 v11, v[5:6], off offset:32
	v_mov_b32_e32 v0, 0
	global_load_u16 v13, v0, s[0:1] offset:108
	v_and_b32_e32 v0, 48, v2
	s_delay_alu instid0(VALU_DEP_1) | instskip(SKIP_1) | instid1(VALU_DEP_2)
	v_or_b32_e32 v2, v0, v12
	v_lshlrev_b32_e64 v0, v10, 1
	v_and_b32_e32 v2, 0xff, v2
	s_delay_alu instid0(VALU_DEP_1) | instskip(SKIP_1) | instid1(VALU_DEP_2)
	v_subrev_nc_u32_e32 v10, 32, v2
	v_lshlrev_b64_e32 v[2:3], 7, v[3:4]
	v_cvt_f32_i32_e32 v4, v10
	s_wait_loadcnt 0x2
	v_and_b32_e32 v8, v0, v8
	s_wait_loadcnt 0x1
	v_lshrrev_b32_e32 v11, v1, v11
	s_delay_alu instid0(VALU_DEP_2)
	v_cmp_eq_u32_e32 vcc_lo, 0, v8
	s_wait_loadcnt 0x0
	v_cvt_f32_f16_e32 v10, v13
	v_lshlrev_b32_e32 v9, 9, v9
	s_wait_alu 0xfffd
	v_cndmask_b32_e64 v8, 0, -4, vcc_lo
	s_delay_alu instid0(VALU_DEP_3) | instskip(SKIP_2) | instid1(VALU_DEP_3)
	v_mul_f32_e32 v4, v10, v4
	s_wait_alu 0xfffe
	v_add_co_u32 v9, s2, s2, v9
	v_and_or_b32 v8, v11, 3, v8
	s_wait_alu 0xf1ff
	v_add_co_ci_u32_e64 v11, null, s3, 0, s2
	s_delay_alu instid0(VALU_DEP_3) | instskip(NEXT) | instid1(VALU_DEP_3)
	v_add_co_u32 v2, vcc_lo, v9, v2
	v_cvt_f32_i32_e32 v8, v8
	v_lshlrev_b32_e32 v9, 2, v7
	s_wait_alu 0xfffd
	v_add_co_ci_u32_e64 v3, null, v11, v3, vcc_lo
	v_add_nc_u32_e32 v10, 4, v7
	v_mul_f32_e32 v8, v4, v8
	v_add_co_u32 v2, vcc_lo, v2, v9
	v_or_b32_e32 v11, 1, v7
	s_wait_alu 0xfffd
	v_add_co_ci_u32_e64 v3, null, 0, v3, vcc_lo
	s_mov_b32 s2, exec_lo
	global_store_b32 v[2:3], v8, off
	v_cmpx_gt_u32_e64 v10, v11
	s_cbranch_execz .LBB23_14
; %bb.13:
	v_add_co_u32 v8, s2, s0, v7
	s_wait_alu 0xf1fe
	v_add_co_ci_u32_e64 v9, null, s1, 0, s2
	s_clause 0x3
	global_load_u16 v8, v[8:9], off offset:2
	global_load_u8 v9, v[5:6], off offset:33
	global_load_u16 v5, v[5:6], off offset:34
	global_load_u8 v6, v7, s[0:1] offset:1
	s_wait_loadcnt 0x3
	v_lshrrev_b16 v7, 8, v8
	v_and_b32_e32 v8, v8, v0
	s_wait_loadcnt 0x1
	v_and_b32_e32 v10, 0xff, v5
	s_wait_loadcnt 0x0
	v_and_b32_e32 v6, v0, v6
	v_lshrrev_b16 v5, 8, v5
	v_lshrrev_b32_e32 v9, v1, v9
	v_and_b32_e32 v8, 0xff, v8
	v_lshrrev_b32_e32 v10, v1, v10
	v_cmp_eq_u32_e32 vcc_lo, 0, v6
	v_and_b32_e32 v5, 0xffff, v5
	s_wait_alu 0xfffd
	v_cndmask_b32_e64 v6, 0, -4, vcc_lo
	v_cmp_eq_u32_e32 vcc_lo, 0, v8
	s_delay_alu instid0(VALU_DEP_3) | instskip(NEXT) | instid1(VALU_DEP_3)
	v_lshrrev_b32_e32 v1, v1, v5
	v_and_or_b32 v6, v9, 3, v6
	s_wait_alu 0xfffd
	v_cndmask_b32_e64 v5, 0, -4, vcc_lo
	s_delay_alu instid0(VALU_DEP_1) | instskip(NEXT) | instid1(VALU_DEP_1)
	v_and_or_b32 v5, v10, 3, v5
	v_cvt_f32_i32_e32 v5, v5
	v_and_b32_e32 v7, 0xffff, v7
	s_delay_alu instid0(VALU_DEP_1) | instskip(NEXT) | instid1(VALU_DEP_1)
	v_and_b32_e32 v0, v0, v7
	v_cmp_eq_u32_e32 vcc_lo, 0, v0
	s_wait_alu 0xfffd
	v_cndmask_b32_e64 v0, 0, -4, vcc_lo
	s_delay_alu instid0(VALU_DEP_1) | instskip(SKIP_1) | instid1(VALU_DEP_2)
	v_and_or_b32 v0, v1, 3, v0
	v_cvt_f32_i32_e32 v1, v6
	v_cvt_f32_i32_e32 v6, v0
	s_delay_alu instid0(VALU_DEP_2) | instskip(SKIP_1) | instid1(VALU_DEP_3)
	v_mul_f32_e32 v7, v4, v1
	v_mul_f32_e32 v0, v4, v5
	;; [unrolled: 1-line block ×3, first 2 shown]
	s_clause 0x1
	global_store_b32 v[2:3], v7, off offset:4
	global_store_b64 v[2:3], v[0:1], off offset:8
.LBB23_14:
	s_endpgm
	.section	.rodata,"a",@progbits
	.p2align	6, 0x0
	.amdhsa_kernel _ZL21dequantize_block_q3_KIfEvPKvPT_
		.amdhsa_group_segment_fixed_size 0
		.amdhsa_private_segment_fixed_size 0
		.amdhsa_kernarg_size 16
		.amdhsa_user_sgpr_count 2
		.amdhsa_user_sgpr_dispatch_ptr 0
		.amdhsa_user_sgpr_queue_ptr 0
		.amdhsa_user_sgpr_kernarg_segment_ptr 1
		.amdhsa_user_sgpr_dispatch_id 0
		.amdhsa_user_sgpr_private_segment_size 0
		.amdhsa_wavefront_size32 1
		.amdhsa_uses_dynamic_stack 0
		.amdhsa_enable_private_segment 0
		.amdhsa_system_sgpr_workgroup_id_x 1
		.amdhsa_system_sgpr_workgroup_id_y 0
		.amdhsa_system_sgpr_workgroup_id_z 0
		.amdhsa_system_sgpr_workgroup_info 0
		.amdhsa_system_vgpr_workitem_id 0
		.amdhsa_next_free_vgpr 14
		.amdhsa_next_free_sgpr 12
		.amdhsa_reserve_vcc 1
		.amdhsa_float_round_mode_32 0
		.amdhsa_float_round_mode_16_64 0
		.amdhsa_float_denorm_mode_32 3
		.amdhsa_float_denorm_mode_16_64 3
		.amdhsa_fp16_overflow 0
		.amdhsa_workgroup_processor_mode 1
		.amdhsa_memory_ordered 1
		.amdhsa_forward_progress 1
		.amdhsa_inst_pref_size 9
		.amdhsa_round_robin_scheduling 0
		.amdhsa_exception_fp_ieee_invalid_op 0
		.amdhsa_exception_fp_denorm_src 0
		.amdhsa_exception_fp_ieee_div_zero 0
		.amdhsa_exception_fp_ieee_overflow 0
		.amdhsa_exception_fp_ieee_underflow 0
		.amdhsa_exception_fp_ieee_inexact 0
		.amdhsa_exception_int_div_zero 0
	.end_amdhsa_kernel
	.section	.text._ZL21dequantize_block_q3_KIfEvPKvPT_,"axG",@progbits,_ZL21dequantize_block_q3_KIfEvPKvPT_,comdat
.Lfunc_end23:
	.size	_ZL21dequantize_block_q3_KIfEvPKvPT_, .Lfunc_end23-_ZL21dequantize_block_q3_KIfEvPKvPT_
                                        ; -- End function
	.set _ZL21dequantize_block_q3_KIfEvPKvPT_.num_vgpr, 14
	.set _ZL21dequantize_block_q3_KIfEvPKvPT_.num_agpr, 0
	.set _ZL21dequantize_block_q3_KIfEvPKvPT_.numbered_sgpr, 12
	.set _ZL21dequantize_block_q3_KIfEvPKvPT_.num_named_barrier, 0
	.set _ZL21dequantize_block_q3_KIfEvPKvPT_.private_seg_size, 0
	.set _ZL21dequantize_block_q3_KIfEvPKvPT_.uses_vcc, 1
	.set _ZL21dequantize_block_q3_KIfEvPKvPT_.uses_flat_scratch, 0
	.set _ZL21dequantize_block_q3_KIfEvPKvPT_.has_dyn_sized_stack, 0
	.set _ZL21dequantize_block_q3_KIfEvPKvPT_.has_recursion, 0
	.set _ZL21dequantize_block_q3_KIfEvPKvPT_.has_indirect_call, 0
	.section	.AMDGPU.csdata,"",@progbits
; Kernel info:
; codeLenInByte = 1136
; TotalNumSgprs: 14
; NumVgprs: 14
; ScratchSize: 0
; MemoryBound: 0
; FloatMode: 240
; IeeeMode: 1
; LDSByteSize: 0 bytes/workgroup (compile time only)
; SGPRBlocks: 0
; VGPRBlocks: 1
; NumSGPRsForWavesPerEU: 14
; NumVGPRsForWavesPerEU: 14
; Occupancy: 16
; WaveLimiterHint : 0
; COMPUTE_PGM_RSRC2:SCRATCH_EN: 0
; COMPUTE_PGM_RSRC2:USER_SGPR: 2
; COMPUTE_PGM_RSRC2:TRAP_HANDLER: 0
; COMPUTE_PGM_RSRC2:TGID_X_EN: 1
; COMPUTE_PGM_RSRC2:TGID_Y_EN: 0
; COMPUTE_PGM_RSRC2:TGID_Z_EN: 0
; COMPUTE_PGM_RSRC2:TIDIG_COMP_CNT: 0
	.section	.text._ZL21dequantize_block_q4_KIfEvPKvPT_,"axG",@progbits,_ZL21dequantize_block_q4_KIfEvPKvPT_,comdat
	.globl	_ZL21dequantize_block_q4_KIfEvPKvPT_ ; -- Begin function _ZL21dequantize_block_q4_KIfEvPKvPT_
	.p2align	8
	.type	_ZL21dequantize_block_q4_KIfEvPKvPT_,@function
_ZL21dequantize_block_q4_KIfEvPKvPT_:   ; @_ZL21dequantize_block_q4_KIfEvPKvPT_
; %bb.0:
	s_load_b64 s[4:5], s[0:1], 0x0
	v_lshrrev_b32_e32 v3, 3, v0
	s_mov_b32 s2, ttmp9
	s_mov_b32 s3, 0
	v_cmp_lt_u32_e32 vcc_lo, 15, v0
	s_mul_u64 s[6:7], s[2:3], 0x90
	v_lshlrev_b32_e32 v1, 1, v3
                                        ; implicit-def: $vgpr5
                                        ; implicit-def: $vgpr4
	s_wait_kmcnt 0x0
	s_add_nc_u64 s[4:5], s[4:5], s[6:7]
	s_delay_alu instid0(VALU_DEP_1) | instid1(SALU_CYCLE_1)
	v_add_co_u32 v1, s6, s4, v1
	s_delay_alu instid0(VALU_DEP_1)
	v_add_co_ci_u32_e64 v2, null, s5, 0, s6
	s_and_saveexec_b32 s6, vcc_lo
	s_wait_alu 0xfffe
	s_xor_b32 s6, exec_lo, s6
	s_cbranch_execz .LBB24_2
; %bb.1:
	s_clause 0x2
	global_load_u8 v4, v[1:2], off
	global_load_u8 v5, v[1:2], off offset:4
	global_load_u8 v6, v[1:2], off offset:8
	s_wait_loadcnt 0x2
	v_lshrrev_b16 v4, 2, v4
	s_wait_loadcnt 0x1
	v_lshrrev_b16 v5, 2, v5
	s_wait_loadcnt 0x0
	v_and_b32_e32 v7, 15, v6
	v_lshrrev_b16 v6, 4, v6
	v_and_b32_e32 v4, 48, v4
	v_and_b32_e32 v5, 48, v5
	s_delay_alu instid0(VALU_DEP_2) | instskip(NEXT) | instid1(VALU_DEP_2)
	v_or_b32_e32 v4, v4, v7
	v_or_b32_e32 v5, v5, v6
.LBB24_2:
	s_wait_alu 0xfffe
	s_and_not1_saveexec_b32 s6, s6
	s_cbranch_execz .LBB24_4
; %bb.3:
	s_clause 0x1
	global_load_u8 v4, v[1:2], off offset:4
	global_load_u8 v5, v[1:2], off offset:8
	s_wait_loadcnt 0x1
	v_and_b32_e32 v4, 63, v4
	s_wait_loadcnt 0x0
	v_and_b32_e32 v5, 63, v5
.LBB24_4:
	s_wait_alu 0xfffe
	s_or_b32 exec_lo, exec_lo, s6
	s_load_b32 s4, s[4:5], 0x0
                                        ; implicit-def: $vgpr7
                                        ; implicit-def: $vgpr6
	s_and_saveexec_b32 s5, vcc_lo
	s_wait_alu 0xfffe
	s_xor_b32 s5, exec_lo, s5
	s_cbranch_execz .LBB24_6
; %bb.5:
	s_clause 0x2
	global_load_u8 v6, v[1:2], off offset:1
	global_load_u8 v7, v[1:2], off offset:5
	;; [unrolled: 1-line block ×3, first 2 shown]
	s_wait_loadcnt 0x2
	v_lshrrev_b16 v6, 2, v6
	s_wait_loadcnt 0x1
	v_lshrrev_b16 v7, 2, v7
	s_wait_loadcnt 0x0
	v_and_b32_e32 v9, 15, v8
	v_lshrrev_b16 v8, 4, v8
	v_and_b32_e32 v6, 48, v6
	v_and_b32_e32 v7, 48, v7
	s_delay_alu instid0(VALU_DEP_2) | instskip(NEXT) | instid1(VALU_DEP_2)
	v_or_b32_e32 v6, v6, v9
	v_or_b32_e32 v7, v7, v8
.LBB24_6:
	s_wait_alu 0xfffe
	s_or_saveexec_b32 s5, s5
	s_load_b64 s[0:1], s[0:1], 0x8
	s_xor_b32 exec_lo, exec_lo, s5
	s_cbranch_execz .LBB24_8
; %bb.7:
	s_clause 0x1
	global_load_u8 v6, v[1:2], off offset:5
	global_load_u8 v7, v[1:2], off offset:9
	s_wait_loadcnt 0x1
	v_and_b32_e32 v6, 63, v6
	s_wait_loadcnt 0x0
	v_and_b32_e32 v7, 63, v7
.LBB24_8:
	s_or_b32 exec_lo, exec_lo, s5
	s_wait_kmcnt 0x0
	s_cvt_hi_f32_f16 s5, s4
	v_lshlrev_b32_e32 v8, 2, v0
	v_mad_co_u64_u32 v[0:1], null, v3, 30, v[1:2]
	s_cvt_f32_f16 s4, s4
	v_cvt_f32_ubyte0_e32 v4, v4
	v_and_b32_e32 v2, 28, v8
	v_lshlrev_b32_e32 v3, 8, v3
	s_lshl_b64 s[2:3], s[2:3], 10
	s_delay_alu instid0(SALU_CYCLE_1) | instskip(NEXT) | instid1(VALU_DEP_2)
	s_add_nc_u64 s[0:1], s[0:1], s[2:3]
	v_add_co_u32 v0, vcc_lo, v0, v2
	s_delay_alu instid0(VALU_DEP_1)
	v_add_co_ci_u32_e64 v1, null, 0, v1, vcc_lo
	s_wait_alu 0xfffe
	v_mul_f32_e32 v4, s4, v4
	global_load_b32 v0, v[0:1], off offset:16
	v_cvt_f32_ubyte0_e32 v1, v5
	v_cvt_f32_ubyte0_e32 v5, v6
	v_cvt_f32_ubyte0_e32 v6, v7
	s_delay_alu instid0(VALU_DEP_3) | instskip(NEXT) | instid1(VALU_DEP_2)
	v_mul_f32_e32 v7, s5, v1
	v_dual_mul_f32 v10, s4, v5 :: v_dual_mul_f32 v11, s5, v6
	v_lshlrev_b32_e32 v1, 2, v2
	v_add_co_u32 v2, s0, s0, v3
	s_wait_alu 0xf1ff
	v_add_co_ci_u32_e64 v3, null, s1, 0, s0
	s_delay_alu instid0(VALU_DEP_2) | instskip(SKIP_1) | instid1(VALU_DEP_2)
	v_add_co_u32 v8, vcc_lo, v2, v1
	s_wait_alu 0xfffd
	v_add_co_ci_u32_e64 v9, null, 0, v3, vcc_lo
	s_wait_loadcnt 0x0
	v_lshrrev_b32_e32 v1, 8, v0
	v_lshrrev_b32_e32 v2, 24, v0
	v_lshrrev_b16 v5, 4, v0
	v_bfe_u32 v12, v0, 16, 4
	v_and_b32_e32 v3, 15, v0
	v_lshrrev_b16 v1, 4, v1
	v_bfe_u32 v6, v0, 8, 4
	v_bfe_u32 v13, v0, 20, 4
	;; [unrolled: 1-line block ×3, first 2 shown]
	v_and_b32_e32 v5, 15, v5
	v_cvt_f32_ubyte0_e32 v12, v12
	v_lshrrev_b16 v15, 4, v2
	v_and_b32_e32 v16, 15, v1
	v_cvt_f32_ubyte0_e32 v3, v3
	v_cvt_f32_ubyte0_e32 v6, v6
	;; [unrolled: 1-line block ×5, first 2 shown]
	v_fma_f32 v2, v4, v12, -v7
	v_cvt_f32_ubyte0_e32 v12, v16
	v_cvt_f32_ubyte0_e32 v15, v15
	v_fma_f32 v0, v4, v3, -v7
	v_fma_f32 v1, v4, v6, -v7
	;; [unrolled: 1-line block ×7, first 2 shown]
	s_clause 0x1
	global_store_b128 v[8:9], v[0:3], off
	global_store_b128 v[8:9], v[4:7], off offset:128
	s_endpgm
	.section	.rodata,"a",@progbits
	.p2align	6, 0x0
	.amdhsa_kernel _ZL21dequantize_block_q4_KIfEvPKvPT_
		.amdhsa_group_segment_fixed_size 0
		.amdhsa_private_segment_fixed_size 0
		.amdhsa_kernarg_size 16
		.amdhsa_user_sgpr_count 2
		.amdhsa_user_sgpr_dispatch_ptr 0
		.amdhsa_user_sgpr_queue_ptr 0
		.amdhsa_user_sgpr_kernarg_segment_ptr 1
		.amdhsa_user_sgpr_dispatch_id 0
		.amdhsa_user_sgpr_private_segment_size 0
		.amdhsa_wavefront_size32 1
		.amdhsa_uses_dynamic_stack 0
		.amdhsa_enable_private_segment 0
		.amdhsa_system_sgpr_workgroup_id_x 1
		.amdhsa_system_sgpr_workgroup_id_y 0
		.amdhsa_system_sgpr_workgroup_id_z 0
		.amdhsa_system_sgpr_workgroup_info 0
		.amdhsa_system_vgpr_workitem_id 0
		.amdhsa_next_free_vgpr 17
		.amdhsa_next_free_sgpr 8
		.amdhsa_reserve_vcc 1
		.amdhsa_float_round_mode_32 0
		.amdhsa_float_round_mode_16_64 0
		.amdhsa_float_denorm_mode_32 3
		.amdhsa_float_denorm_mode_16_64 3
		.amdhsa_fp16_overflow 0
		.amdhsa_workgroup_processor_mode 1
		.amdhsa_memory_ordered 1
		.amdhsa_forward_progress 1
		.amdhsa_inst_pref_size 7
		.amdhsa_round_robin_scheduling 0
		.amdhsa_exception_fp_ieee_invalid_op 0
		.amdhsa_exception_fp_denorm_src 0
		.amdhsa_exception_fp_ieee_div_zero 0
		.amdhsa_exception_fp_ieee_overflow 0
		.amdhsa_exception_fp_ieee_underflow 0
		.amdhsa_exception_fp_ieee_inexact 0
		.amdhsa_exception_int_div_zero 0
	.end_amdhsa_kernel
	.section	.text._ZL21dequantize_block_q4_KIfEvPKvPT_,"axG",@progbits,_ZL21dequantize_block_q4_KIfEvPKvPT_,comdat
.Lfunc_end24:
	.size	_ZL21dequantize_block_q4_KIfEvPKvPT_, .Lfunc_end24-_ZL21dequantize_block_q4_KIfEvPKvPT_
                                        ; -- End function
	.set _ZL21dequantize_block_q4_KIfEvPKvPT_.num_vgpr, 17
	.set _ZL21dequantize_block_q4_KIfEvPKvPT_.num_agpr, 0
	.set _ZL21dequantize_block_q4_KIfEvPKvPT_.numbered_sgpr, 8
	.set _ZL21dequantize_block_q4_KIfEvPKvPT_.num_named_barrier, 0
	.set _ZL21dequantize_block_q4_KIfEvPKvPT_.private_seg_size, 0
	.set _ZL21dequantize_block_q4_KIfEvPKvPT_.uses_vcc, 1
	.set _ZL21dequantize_block_q4_KIfEvPKvPT_.uses_flat_scratch, 0
	.set _ZL21dequantize_block_q4_KIfEvPKvPT_.has_dyn_sized_stack, 0
	.set _ZL21dequantize_block_q4_KIfEvPKvPT_.has_recursion, 0
	.set _ZL21dequantize_block_q4_KIfEvPKvPT_.has_indirect_call, 0
	.section	.AMDGPU.csdata,"",@progbits
; Kernel info:
; codeLenInByte = 816
; TotalNumSgprs: 10
; NumVgprs: 17
; ScratchSize: 0
; MemoryBound: 0
; FloatMode: 240
; IeeeMode: 1
; LDSByteSize: 0 bytes/workgroup (compile time only)
; SGPRBlocks: 0
; VGPRBlocks: 2
; NumSGPRsForWavesPerEU: 10
; NumVGPRsForWavesPerEU: 17
; Occupancy: 16
; WaveLimiterHint : 1
; COMPUTE_PGM_RSRC2:SCRATCH_EN: 0
; COMPUTE_PGM_RSRC2:USER_SGPR: 2
; COMPUTE_PGM_RSRC2:TRAP_HANDLER: 0
; COMPUTE_PGM_RSRC2:TGID_X_EN: 1
; COMPUTE_PGM_RSRC2:TGID_Y_EN: 0
; COMPUTE_PGM_RSRC2:TGID_Z_EN: 0
; COMPUTE_PGM_RSRC2:TIDIG_COMP_CNT: 0
	.section	.text._ZL21dequantize_block_q5_KIfEvPKvPT_,"axG",@progbits,_ZL21dequantize_block_q5_KIfEvPKvPT_,comdat
	.globl	_ZL21dequantize_block_q5_KIfEvPKvPT_ ; -- Begin function _ZL21dequantize_block_q5_KIfEvPKvPT_
	.p2align	8
	.type	_ZL21dequantize_block_q5_KIfEvPKvPT_,@function
_ZL21dequantize_block_q5_KIfEvPKvPT_:   ; @_ZL21dequantize_block_q5_KIfEvPKvPT_
; %bb.0:
	s_load_b64 s[4:5], s[0:1], 0x0
	v_lshrrev_b32_e32 v4, 4, v0
	s_mov_b32 s2, ttmp9
	s_mov_b32 s3, 0
	v_cmp_lt_u32_e32 vcc_lo, 31, v0
	s_mul_u64 s[6:7], s[2:3], 0xb0
	v_lshlrev_b32_e32 v3, 1, v4
                                        ; implicit-def: $vgpr6
                                        ; implicit-def: $vgpr5
	s_wait_kmcnt 0x0
	s_add_nc_u64 s[4:5], s[4:5], s[6:7]
	s_delay_alu instid0(VALU_DEP_1) | instid1(SALU_CYCLE_1)
	v_add_co_u32 v1, s6, s4, v3
	s_delay_alu instid0(VALU_DEP_1)
	v_add_co_ci_u32_e64 v2, null, s5, 0, s6
	s_and_saveexec_b32 s6, vcc_lo
	s_wait_alu 0xfffe
	s_xor_b32 s6, exec_lo, s6
	s_cbranch_execz .LBB25_2
; %bb.1:
	s_clause 0x2
	global_load_u8 v5, v[1:2], off
	global_load_u8 v6, v[1:2], off offset:4
	global_load_u8 v7, v[1:2], off offset:8
	s_wait_loadcnt 0x2
	v_lshrrev_b16 v5, 2, v5
	s_wait_loadcnt 0x1
	v_lshrrev_b16 v6, 2, v6
	s_wait_loadcnt 0x0
	v_and_b32_e32 v8, 15, v7
	v_lshrrev_b16 v7, 4, v7
	v_and_b32_e32 v5, 48, v5
	v_and_b32_e32 v6, 48, v6
	s_delay_alu instid0(VALU_DEP_2) | instskip(NEXT) | instid1(VALU_DEP_2)
	v_or_b32_e32 v5, v5, v8
	v_or_b32_e32 v6, v6, v7
.LBB25_2:
	s_wait_alu 0xfffe
	s_and_not1_saveexec_b32 s6, s6
	s_cbranch_execz .LBB25_4
; %bb.3:
	s_clause 0x1
	global_load_u8 v5, v[1:2], off offset:4
	global_load_u8 v6, v[1:2], off offset:8
	s_wait_loadcnt 0x1
	v_and_b32_e32 v5, 63, v5
	s_wait_loadcnt 0x0
	v_and_b32_e32 v6, 63, v6
.LBB25_4:
	s_wait_alu 0xfffe
	s_or_b32 exec_lo, exec_lo, s6
	s_load_b32 s6, s[4:5], 0x0
                                        ; implicit-def: $vgpr8
                                        ; implicit-def: $vgpr7
	s_and_saveexec_b32 s7, vcc_lo
	s_wait_alu 0xfffe
	s_xor_b32 s7, exec_lo, s7
	s_cbranch_execz .LBB25_6
; %bb.5:
	s_clause 0x2
	global_load_u8 v7, v[1:2], off offset:1
	global_load_u8 v8, v[1:2], off offset:5
	;; [unrolled: 1-line block ×3, first 2 shown]
	s_wait_loadcnt 0x2
	v_lshrrev_b16 v7, 2, v7
	s_wait_loadcnt 0x1
	v_lshrrev_b16 v8, 2, v8
	s_wait_loadcnt 0x0
	v_and_b32_e32 v10, 15, v9
	v_lshrrev_b16 v9, 4, v9
	v_and_b32_e32 v7, 48, v7
	v_and_b32_e32 v8, 48, v8
	s_delay_alu instid0(VALU_DEP_2) | instskip(NEXT) | instid1(VALU_DEP_2)
	v_or_b32_e32 v7, v7, v10
	v_or_b32_e32 v8, v8, v9
.LBB25_6:
	s_wait_alu 0xfffe
	s_or_saveexec_b32 s7, s7
	s_load_b64 s[0:1], s[0:1], 0x8
	s_xor_b32 exec_lo, exec_lo, s7
	s_cbranch_execz .LBB25_8
; %bb.7:
	s_clause 0x1
	global_load_u8 v7, v[1:2], off offset:5
	global_load_u8 v8, v[1:2], off offset:9
	s_wait_loadcnt 0x1
	v_and_b32_e32 v7, 63, v7
	s_wait_loadcnt 0x0
	v_and_b32_e32 v8, 63, v8
.LBB25_8:
	s_or_b32 exec_lo, exec_lo, s7
	v_cvt_f32_ubyte0_e32 v6, v6
	v_lshlrev_b32_e32 v9, 1, v0
	v_mad_co_u64_u32 v[0:1], null, v4, 30, v[1:2]
	v_cvt_f32_ubyte0_e32 v7, v7
	v_cvt_f32_ubyte0_e32 v8, v8
	s_delay_alu instid0(VALU_DEP_4)
	v_and_b32_e32 v2, 30, v9
	v_lshlrev_b32_e64 v9, v3, 1
	v_lshlrev_b32_e64 v3, v3, 2
	v_cvt_f32_ubyte0_e32 v5, v5
	s_lshl_b64 s[2:3], s[2:3], 10
	v_add_co_u32 v0, vcc_lo, v0, v2
	s_delay_alu instid0(VALU_DEP_1)
	v_add_co_ci_u32_e64 v1, null, 0, v1, vcc_lo
	s_wait_kmcnt 0x0
	s_add_nc_u64 s[0:1], s[0:1], s[2:3]
	s_clause 0x1
	global_load_u16 v0, v[0:1], off offset:48
	global_load_u16 v1, v2, s[4:5] offset:16
	s_cvt_hi_f32_f16 s4, s6
	s_cvt_f32_f16 s5, s6
	v_lshlrev_b32_e32 v4, 8, v4
	s_wait_alu 0xfffe
	s_delay_alu instid0(SALU_CYCLE_1) | instskip(SKIP_1) | instid1(VALU_DEP_3)
	v_dual_mul_f32 v6, s4, v6 :: v_dual_mul_f32 v5, s5, v5
	v_mul_f32_e32 v7, s5, v7
	v_add_co_u32 v4, s0, s0, v4
	v_lshlrev_b32_e32 v2, 2, v2
	s_wait_alu 0xf1ff
	v_add_co_ci_u32_e64 v10, null, s1, 0, s0
	v_mul_f32_e32 v8, s4, v8
	s_wait_loadcnt 0x1
	v_lshrrev_b16 v11, 8, v0
	s_wait_loadcnt 0x0
	v_lshrrev_b16 v12, 8, v1
	v_and_b32_e32 v1, 0xff, v1
	v_lshrrev_b16 v14, 4, v0
	v_and_b32_e32 v13, 15, v0
	v_and_b32_e32 v11, 15, v11
	;; [unrolled: 1-line block ×5, first 2 shown]
	v_lshrrev_b16 v0, 12, v0
	v_and_b32_e32 v14, 15, v14
	v_and_b32_e32 v9, v9, v12
	v_cmp_eq_u32_e32 vcc_lo, 0, v15
	v_and_b32_e32 v3, v3, v12
	s_wait_alu 0xfffd
	v_cndmask_b32_e64 v15, 16, 0, vcc_lo
	v_cmp_eq_u32_e32 vcc_lo, 0, v1
	s_delay_alu instid0(VALU_DEP_2) | instskip(SKIP_3) | instid1(VALU_DEP_2)
	v_or_b32_e32 v12, v15, v13
	s_wait_alu 0xfffd
	v_cndmask_b32_e64 v1, 16, 0, vcc_lo
	v_cmp_eq_u32_e32 vcc_lo, 0, v9
	v_or_b32_e32 v1, v1, v14
	s_wait_alu 0xfffd
	v_cndmask_b32_e64 v9, 16, 0, vcc_lo
	v_cmp_eq_u32_e32 vcc_lo, 0, v3
	s_delay_alu instid0(VALU_DEP_2) | instskip(SKIP_3) | instid1(VALU_DEP_3)
	v_or_b32_e32 v9, v9, v11
	s_wait_alu 0xfffd
	v_cndmask_b32_e64 v3, 16, 0, vcc_lo
	v_cvt_f32_ubyte0_e32 v11, v1
	v_cvt_f32_ubyte0_e32 v9, v9
	s_delay_alu instid0(VALU_DEP_3) | instskip(SKIP_1) | instid1(VALU_DEP_2)
	v_or_b32_e32 v0, v3, v0
	v_cvt_f32_ubyte0_e32 v3, v12
	v_cvt_f32_ubyte0_e32 v12, v0
	v_add_co_u32 v0, vcc_lo, v4, v2
	s_wait_alu 0xfffd
	v_add_co_ci_u32_e64 v1, null, 0, v10, vcc_lo
	v_fma_f32 v2, v5, v3, -v6
	v_fma_f32 v3, v5, v9, -v6
	;; [unrolled: 1-line block ×4, first 2 shown]
	s_clause 0x1
	global_store_b64 v[0:1], v[2:3], off
	global_store_b64 v[0:1], v[4:5], off offset:128
	s_endpgm
	.section	.rodata,"a",@progbits
	.p2align	6, 0x0
	.amdhsa_kernel _ZL21dequantize_block_q5_KIfEvPKvPT_
		.amdhsa_group_segment_fixed_size 0
		.amdhsa_private_segment_fixed_size 0
		.amdhsa_kernarg_size 16
		.amdhsa_user_sgpr_count 2
		.amdhsa_user_sgpr_dispatch_ptr 0
		.amdhsa_user_sgpr_queue_ptr 0
		.amdhsa_user_sgpr_kernarg_segment_ptr 1
		.amdhsa_user_sgpr_dispatch_id 0
		.amdhsa_user_sgpr_private_segment_size 0
		.amdhsa_wavefront_size32 1
		.amdhsa_uses_dynamic_stack 0
		.amdhsa_enable_private_segment 0
		.amdhsa_system_sgpr_workgroup_id_x 1
		.amdhsa_system_sgpr_workgroup_id_y 0
		.amdhsa_system_sgpr_workgroup_id_z 0
		.amdhsa_system_sgpr_workgroup_info 0
		.amdhsa_system_vgpr_workitem_id 0
		.amdhsa_next_free_vgpr 16
		.amdhsa_next_free_sgpr 8
		.amdhsa_reserve_vcc 1
		.amdhsa_float_round_mode_32 0
		.amdhsa_float_round_mode_16_64 0
		.amdhsa_float_denorm_mode_32 3
		.amdhsa_float_denorm_mode_16_64 3
		.amdhsa_fp16_overflow 0
		.amdhsa_workgroup_processor_mode 1
		.amdhsa_memory_ordered 1
		.amdhsa_forward_progress 1
		.amdhsa_inst_pref_size 7
		.amdhsa_round_robin_scheduling 0
		.amdhsa_exception_fp_ieee_invalid_op 0
		.amdhsa_exception_fp_denorm_src 0
		.amdhsa_exception_fp_ieee_div_zero 0
		.amdhsa_exception_fp_ieee_overflow 0
		.amdhsa_exception_fp_ieee_underflow 0
		.amdhsa_exception_fp_ieee_inexact 0
		.amdhsa_exception_int_div_zero 0
	.end_amdhsa_kernel
	.section	.text._ZL21dequantize_block_q5_KIfEvPKvPT_,"axG",@progbits,_ZL21dequantize_block_q5_KIfEvPKvPT_,comdat
.Lfunc_end25:
	.size	_ZL21dequantize_block_q5_KIfEvPKvPT_, .Lfunc_end25-_ZL21dequantize_block_q5_KIfEvPKvPT_
                                        ; -- End function
	.set _ZL21dequantize_block_q5_KIfEvPKvPT_.num_vgpr, 16
	.set _ZL21dequantize_block_q5_KIfEvPKvPT_.num_agpr, 0
	.set _ZL21dequantize_block_q5_KIfEvPKvPT_.numbered_sgpr, 8
	.set _ZL21dequantize_block_q5_KIfEvPKvPT_.num_named_barrier, 0
	.set _ZL21dequantize_block_q5_KIfEvPKvPT_.private_seg_size, 0
	.set _ZL21dequantize_block_q5_KIfEvPKvPT_.uses_vcc, 1
	.set _ZL21dequantize_block_q5_KIfEvPKvPT_.uses_flat_scratch, 0
	.set _ZL21dequantize_block_q5_KIfEvPKvPT_.has_dyn_sized_stack, 0
	.set _ZL21dequantize_block_q5_KIfEvPKvPT_.has_recursion, 0
	.set _ZL21dequantize_block_q5_KIfEvPKvPT_.has_indirect_call, 0
	.section	.AMDGPU.csdata,"",@progbits
; Kernel info:
; codeLenInByte = 892
; TotalNumSgprs: 10
; NumVgprs: 16
; ScratchSize: 0
; MemoryBound: 0
; FloatMode: 240
; IeeeMode: 1
; LDSByteSize: 0 bytes/workgroup (compile time only)
; SGPRBlocks: 0
; VGPRBlocks: 1
; NumSGPRsForWavesPerEU: 10
; NumVGPRsForWavesPerEU: 16
; Occupancy: 16
; WaveLimiterHint : 1
; COMPUTE_PGM_RSRC2:SCRATCH_EN: 0
; COMPUTE_PGM_RSRC2:USER_SGPR: 2
; COMPUTE_PGM_RSRC2:TRAP_HANDLER: 0
; COMPUTE_PGM_RSRC2:TGID_X_EN: 1
; COMPUTE_PGM_RSRC2:TGID_Y_EN: 0
; COMPUTE_PGM_RSRC2:TGID_Z_EN: 0
; COMPUTE_PGM_RSRC2:TIDIG_COMP_CNT: 0
	.section	.text._ZL21dequantize_block_q6_KIfEvPKvPT_,"axG",@progbits,_ZL21dequantize_block_q6_KIfEvPKvPT_,comdat
	.globl	_ZL21dequantize_block_q6_KIfEvPKvPT_ ; -- Begin function _ZL21dequantize_block_q6_KIfEvPKvPT_
	.p2align	8
	.type	_ZL21dequantize_block_q6_KIfEvPKvPT_,@function
_ZL21dequantize_block_q6_KIfEvPKvPT_:   ; @_ZL21dequantize_block_q6_KIfEvPKvPT_
; %bb.0:
	s_load_b128 s[0:3], s[0:1], 0x0
	s_mov_b32 s4, ttmp9
	s_mov_b32 s5, 0
	v_mov_b32_e32 v1, 0
	s_mul_u64 s[6:7], s[4:5], 0xd2
	v_lshrrev_b32_e32 v4, 5, v0
	v_bfe_u32 v2, v0, 4, 1
	s_delay_alu instid0(VALU_DEP_2)
	v_lshlrev_b32_e32 v3, 6, v4
	v_mul_i32_i24_e32 v7, 0xffffffc8, v4
	v_mul_hi_i32_i24_e32 v6, 0xffffffc8, v4
	s_wait_kmcnt 0x0
	s_add_nc_u64 s[0:1], s[0:1], s[6:7]
	s_clause 0x1
	global_load_u16 v9, v1, s[0:1] offset:208
	global_load_u8 v10, v0, s[0:1] offset:128
	v_add_co_u32 v3, s6, s0, v3
	s_delay_alu instid0(VALU_DEP_1) | instskip(SKIP_2) | instid1(VALU_DEP_1)
	v_add_co_ci_u32_e64 v8, null, s1, 0, s6
	s_lshl_b64 s[0:1], s[4:5], 10
	v_add_co_u32 v7, vcc_lo, v3, v7
	v_add_co_ci_u32_e64 v6, null, v8, v6, vcc_lo
	s_wait_alu 0xfffe
	s_add_nc_u64 s[0:1], s[2:3], s[0:1]
	s_wait_loadcnt 0x1
	v_cvt_f32_f16_e32 v9, v9
	v_and_b32_e32 v5, 31, v0
	s_wait_loadcnt 0x0
	v_lshlrev_b16 v12, 2, v10
	v_lshrrev_b16 v13, 2, v10
	s_delay_alu instid0(VALU_DEP_3)
	v_add_co_u32 v0, vcc_lo, v3, v5
	s_wait_alu 0xfffd
	v_add_co_ci_u32_e64 v1, null, 0, v8, vcc_lo
	v_add_co_u32 v2, vcc_lo, v7, v2
	s_wait_alu 0xfffd
	v_add_co_ci_u32_e64 v3, null, 0, v6, vcc_lo
	s_clause 0x5
	global_load_u8 v6, v[0:1], off
	global_load_i8 v7, v[2:3], off offset:192
	global_load_i8 v8, v[2:3], off offset:194
	;; [unrolled: 1-line block ×4, first 2 shown]
	global_load_u8 v0, v[0:1], off offset:32
	v_and_b32_e32 v13, 48, v13
	s_wait_loadcnt 0x4
	v_cvt_f32_i32_e32 v7, v7
	s_wait_loadcnt 0x3
	v_cvt_f32_i32_e32 v8, v8
	v_and_b32_e32 v14, 15, v6
	s_wait_loadcnt 0x1
	v_cvt_f32_i32_e32 v2, v2
	v_lshrrev_b16 v6, 4, v6
	v_mul_f32_e32 v7, v9, v7
	v_cvt_f32_i32_e32 v11, v11
	v_and_b32_e32 v12, 48, v12
	v_dual_mul_f32 v2, v9, v2 :: v_dual_lshlrev_b32 v3, 2, v5
	v_mul_f32_e32 v8, v9, v8
	v_lshlrev_b16 v5, 4, v10
	v_dual_mul_f32 v11, v9, v11 :: v_dual_and_b32 v10, 48, v10
	s_delay_alu instid0(VALU_DEP_2) | instskip(NEXT) | instid1(VALU_DEP_2)
	v_and_b32_e32 v5, 48, v5
	v_or_b32_e32 v6, v6, v10
	s_delay_alu instid0(VALU_DEP_2) | instskip(NEXT) | instid1(VALU_DEP_2)
	v_or_b32_e32 v5, v14, v5
	v_and_b32_e32 v6, 0xffff, v6
	s_delay_alu instid0(VALU_DEP_2) | instskip(NEXT) | instid1(VALU_DEP_2)
	v_and_b32_e32 v5, 0xffff, v5
	v_subrev_nc_u32_e32 v6, 32, v6
	s_delay_alu instid0(VALU_DEP_2) | instskip(NEXT) | instid1(VALU_DEP_2)
	v_subrev_nc_u32_e32 v5, 32, v5
	v_cvt_f32_i32_e32 v6, v6
	s_delay_alu instid0(VALU_DEP_2) | instskip(SKIP_3) | instid1(VALU_DEP_2)
	v_cvt_f32_i32_e32 v5, v5
	s_wait_loadcnt 0x0
	v_and_b32_e32 v14, 15, v0
	v_lshrrev_b16 v0, 4, v0
	v_or_b32_e32 v10, v14, v12
	s_delay_alu instid0(VALU_DEP_2) | instskip(NEXT) | instid1(VALU_DEP_2)
	v_or_b32_e32 v0, v0, v13
	v_and_b32_e32 v10, 0xffff, v10
	s_delay_alu instid0(VALU_DEP_2) | instskip(NEXT) | instid1(VALU_DEP_2)
	v_and_b32_e32 v0, 0xffff, v0
	v_subrev_nc_u32_e32 v10, 32, v10
	s_delay_alu instid0(VALU_DEP_2) | instskip(NEXT) | instid1(VALU_DEP_2)
	v_subrev_nc_u32_e32 v0, 32, v0
	v_cvt_f32_i32_e32 v9, v10
	s_delay_alu instid0(VALU_DEP_2) | instskip(NEXT) | instid1(VALU_DEP_1)
	v_cvt_f32_i32_e32 v10, v0
	v_dual_mul_f32 v2, v2, v10 :: v_dual_lshlrev_b32 v1, 9, v4
	s_wait_alu 0xfffe
	s_delay_alu instid0(VALU_DEP_1) | instskip(SKIP_2) | instid1(VALU_DEP_2)
	v_add_co_u32 v1, s0, s0, v1
	s_wait_alu 0xf1ff
	v_add_co_ci_u32_e64 v4, null, s1, 0, s0
	v_add_co_u32 v0, vcc_lo, v1, v3
	s_wait_alu 0xfffd
	s_delay_alu instid0(VALU_DEP_2)
	v_add_co_ci_u32_e64 v1, null, 0, v4, vcc_lo
	v_mul_f32_e32 v3, v7, v5
	v_dual_mul_f32 v4, v8, v9 :: v_dual_mul_f32 v5, v11, v6
	s_clause 0x3
	global_store_b32 v[0:1], v3, off
	global_store_b32 v[0:1], v4, off offset:128
	global_store_b32 v[0:1], v5, off offset:256
	global_store_b32 v[0:1], v2, off offset:384
	s_endpgm
	.section	.rodata,"a",@progbits
	.p2align	6, 0x0
	.amdhsa_kernel _ZL21dequantize_block_q6_KIfEvPKvPT_
		.amdhsa_group_segment_fixed_size 0
		.amdhsa_private_segment_fixed_size 0
		.amdhsa_kernarg_size 16
		.amdhsa_user_sgpr_count 2
		.amdhsa_user_sgpr_dispatch_ptr 0
		.amdhsa_user_sgpr_queue_ptr 0
		.amdhsa_user_sgpr_kernarg_segment_ptr 1
		.amdhsa_user_sgpr_dispatch_id 0
		.amdhsa_user_sgpr_private_segment_size 0
		.amdhsa_wavefront_size32 1
		.amdhsa_uses_dynamic_stack 0
		.amdhsa_enable_private_segment 0
		.amdhsa_system_sgpr_workgroup_id_x 1
		.amdhsa_system_sgpr_workgroup_id_y 0
		.amdhsa_system_sgpr_workgroup_id_z 0
		.amdhsa_system_sgpr_workgroup_info 0
		.amdhsa_system_vgpr_workitem_id 0
		.amdhsa_next_free_vgpr 15
		.amdhsa_next_free_sgpr 8
		.amdhsa_reserve_vcc 1
		.amdhsa_float_round_mode_32 0
		.amdhsa_float_round_mode_16_64 0
		.amdhsa_float_denorm_mode_32 3
		.amdhsa_float_denorm_mode_16_64 3
		.amdhsa_fp16_overflow 0
		.amdhsa_workgroup_processor_mode 1
		.amdhsa_memory_ordered 1
		.amdhsa_forward_progress 1
		.amdhsa_inst_pref_size 6
		.amdhsa_round_robin_scheduling 0
		.amdhsa_exception_fp_ieee_invalid_op 0
		.amdhsa_exception_fp_denorm_src 0
		.amdhsa_exception_fp_ieee_div_zero 0
		.amdhsa_exception_fp_ieee_overflow 0
		.amdhsa_exception_fp_ieee_underflow 0
		.amdhsa_exception_fp_ieee_inexact 0
		.amdhsa_exception_int_div_zero 0
	.end_amdhsa_kernel
	.section	.text._ZL21dequantize_block_q6_KIfEvPKvPT_,"axG",@progbits,_ZL21dequantize_block_q6_KIfEvPKvPT_,comdat
.Lfunc_end26:
	.size	_ZL21dequantize_block_q6_KIfEvPKvPT_, .Lfunc_end26-_ZL21dequantize_block_q6_KIfEvPKvPT_
                                        ; -- End function
	.set _ZL21dequantize_block_q6_KIfEvPKvPT_.num_vgpr, 15
	.set _ZL21dequantize_block_q6_KIfEvPKvPT_.num_agpr, 0
	.set _ZL21dequantize_block_q6_KIfEvPKvPT_.numbered_sgpr, 8
	.set _ZL21dequantize_block_q6_KIfEvPKvPT_.num_named_barrier, 0
	.set _ZL21dequantize_block_q6_KIfEvPKvPT_.private_seg_size, 0
	.set _ZL21dequantize_block_q6_KIfEvPKvPT_.uses_vcc, 1
	.set _ZL21dequantize_block_q6_KIfEvPKvPT_.uses_flat_scratch, 0
	.set _ZL21dequantize_block_q6_KIfEvPKvPT_.has_dyn_sized_stack, 0
	.set _ZL21dequantize_block_q6_KIfEvPKvPT_.has_recursion, 0
	.set _ZL21dequantize_block_q6_KIfEvPKvPT_.has_indirect_call, 0
	.section	.AMDGPU.csdata,"",@progbits
; Kernel info:
; codeLenInByte = 644
; TotalNumSgprs: 10
; NumVgprs: 15
; ScratchSize: 0
; MemoryBound: 0
; FloatMode: 240
; IeeeMode: 1
; LDSByteSize: 0 bytes/workgroup (compile time only)
; SGPRBlocks: 0
; VGPRBlocks: 1
; NumSGPRsForWavesPerEU: 10
; NumVGPRsForWavesPerEU: 15
; Occupancy: 16
; WaveLimiterHint : 0
; COMPUTE_PGM_RSRC2:SCRATCH_EN: 0
; COMPUTE_PGM_RSRC2:USER_SGPR: 2
; COMPUTE_PGM_RSRC2:TRAP_HANDLER: 0
; COMPUTE_PGM_RSRC2:TGID_X_EN: 1
; COMPUTE_PGM_RSRC2:TGID_Y_EN: 0
; COMPUTE_PGM_RSRC2:TGID_Z_EN: 0
; COMPUTE_PGM_RSRC2:TIDIG_COMP_CNT: 0
	.section	.text._ZL24dequantize_block_iq2_xxsIfEvPKvPT_,"axG",@progbits,_ZL24dequantize_block_iq2_xxsIfEvPKvPT_,comdat
	.globl	_ZL24dequantize_block_iq2_xxsIfEvPKvPT_ ; -- Begin function _ZL24dequantize_block_iq2_xxsIfEvPKvPT_
	.p2align	8
	.type	_ZL24dequantize_block_iq2_xxsIfEvPKvPT_,@function
_ZL24dequantize_block_iq2_xxsIfEvPKvPT_: ; @_ZL24dequantize_block_iq2_xxsIfEvPKvPT_
; %bb.0:
	s_load_b128 s[0:3], s[0:1], 0x0
	v_dual_mov_b32 v6, 0 :: v_dual_and_b32 v3, 7, v0
	s_mov_b32 s4, ttmp9
	s_mov_b32 s5, 0
	v_lshrrev_b32_e32 v5, 3, v0
	s_delay_alu instid0(VALU_DEP_2) | instskip(SKIP_2) | instid1(VALU_DEP_1)
	v_lshlrev_b32_e32 v4, 3, v3
	s_mul_u64 s[6:7], s[4:5], 0x42
	v_and_b32_e32 v0, 0x3f8, v0
	v_lshlrev_b32_e32 v0, 2, v0
	s_wait_kmcnt 0x0
	s_add_nc_u64 s[0:1], s[0:1], s[6:7]
	s_delay_alu instid0(SALU_CYCLE_1) | instskip(NEXT) | instid1(VALU_DEP_1)
	v_add_co_u32 v1, s6, s0, v4
	v_add_co_ci_u32_e64 v2, null, s1, 0, s6
	s_delay_alu instid0(VALU_DEP_2) | instskip(NEXT) | instid1(VALU_DEP_1)
	v_add_co_u32 v1, vcc_lo, v1, v5
	v_add_co_ci_u32_e64 v2, null, 0, v2, vcc_lo
	s_clause 0x2
	global_load_u8 v1, v[1:2], off offset:2
	global_load_u16 v6, v6, s[0:1]
	global_load_b32 v4, v4, s[0:1] offset:6
	v_mul_u32_u24_e32 v2, 7, v5
	s_getpc_b64 s[0:1]
	s_wait_alu 0xfffe
	s_sext_i32_i16 s1, s1
	s_add_co_u32 s0, s0, _ZL11iq2xxs_grid@rel32@lo+12
	s_wait_alu 0xfffe
	s_add_co_ci_u32 s1, s1, _ZL11iq2xxs_grid@rel32@hi+24
	s_getpc_b64 s[6:7]
	s_wait_alu 0xfffe
	s_sext_i32_i16 s7, s7
	s_add_co_u32 s6, s6, _ZL12ksigns_iq2xs@rel32@lo+12
	s_wait_alu 0xfffe
	s_add_co_ci_u32 s7, s7, _ZL12ksigns_iq2xs@rel32@hi+24
	s_wait_loadcnt 0x1
	v_cvt_f32_f16_e32 v5, v6
	s_wait_loadcnt 0x0
	v_bfe_u32 v7, v4, v2, 7
	v_lshrrev_b32_e32 v4, 28, v4
	s_delay_alu instid0(VALU_DEP_1) | instskip(NEXT) | instid1(VALU_DEP_1)
	v_cvt_f32_ubyte0_e32 v4, v4
	v_dual_add_f32 v4, 0.5, v4 :: v_dual_lshlrev_b32 v1, 3, v1
	global_load_b64 v[1:2], v1, s[0:1]
	global_load_i8 v10, v7, s[6:7]
	v_lshlrev_b32_e32 v3, 7, v3
	s_lshl_b64 s[0:1], s[4:5], 10
	s_wait_alu 0xfffe
	s_add_nc_u64 s[0:1], s[2:3], s[0:1]
	v_mul_f32_e32 v4, v4, v5
	s_wait_alu 0xfffe
	v_add_co_u32 v3, s0, s0, v3
	s_wait_alu 0xf1ff
	v_add_co_ci_u32_e64 v6, null, s1, 0, s0
	s_delay_alu instid0(VALU_DEP_2) | instskip(SKIP_2) | instid1(VALU_DEP_3)
	v_add_co_u32 v8, vcc_lo, v3, v0
	v_mul_f32_e32 v0, 0x3e800000, v4
	s_wait_alu 0xfffd
	v_add_co_ci_u32_e64 v9, null, 0, v6, vcc_lo
	s_wait_loadcnt 0x1
	v_cvt_f32_ubyte0_e32 v3, v1
	s_wait_loadcnt 0x0
	v_and_b32_e32 v13, 8, v10
	v_and_b32_e32 v4, 1, v10
	v_cvt_f32_ubyte1_e32 v5, v1
	v_cvt_f32_ubyte2_e32 v11, v1
	v_and_b32_e32 v6, 2, v10
	v_cvt_f32_ubyte3_e32 v1, v1
	v_cvt_f32_ubyte0_e32 v14, v2
	v_cvt_f32_ubyte1_e32 v16, v2
	v_cvt_f32_ubyte2_e32 v18, v2
	v_cvt_f32_ubyte3_e32 v2, v2
	v_mul_f32_e32 v3, v0, v3
	v_cmp_eq_u16_e32 vcc_lo, 0, v4
	v_dual_mul_f32 v19, v0, v1 :: v_dual_and_b32 v12, 4, v10
	v_dual_mul_f32 v16, v0, v16 :: v_dual_and_b32 v15, 16, v10
	v_mul_f32_e32 v5, v0, v5
	v_mul_f32_e32 v11, v0, v11
	;; [unrolled: 1-line block ×5, first 2 shown]
	s_wait_alu 0xfffd
	v_cndmask_b32_e64 v0, -v3, v3, vcc_lo
	v_cmp_eq_u16_e32 vcc_lo, 0, v6
	v_and_b32_e32 v17, 32, v10
	s_wait_alu 0xfffd
	v_cndmask_b32_e64 v1, -v5, v5, vcc_lo
	v_cmp_eq_u16_e32 vcc_lo, 0, v12
	s_wait_alu 0xfffd
	v_cndmask_b32_e64 v2, -v11, v11, vcc_lo
	v_cmp_eq_u16_e32 vcc_lo, 0, v13
	;; [unrolled: 3-line block ×4, first 2 shown]
	s_wait_alu 0xfffd
	v_cndmask_b32_e64 v5, -v16, v16, vcc_lo
	v_cmp_gt_u32_e32 vcc_lo, 64, v7
	s_wait_alu 0xfffd
	v_cndmask_b32_e64 v6, -v18, v18, vcc_lo
	v_cmp_gt_i16_e32 vcc_lo, 0, v10
	s_wait_alu 0xfffd
	v_cndmask_b32_e64 v7, v20, -v20, vcc_lo
	s_clause 0x1
	global_store_b128 v[8:9], v[0:3], off
	global_store_b128 v[8:9], v[4:7], off offset:16
	s_endpgm
	.section	.rodata,"a",@progbits
	.p2align	6, 0x0
	.amdhsa_kernel _ZL24dequantize_block_iq2_xxsIfEvPKvPT_
		.amdhsa_group_segment_fixed_size 0
		.amdhsa_private_segment_fixed_size 0
		.amdhsa_kernarg_size 16
		.amdhsa_user_sgpr_count 2
		.amdhsa_user_sgpr_dispatch_ptr 0
		.amdhsa_user_sgpr_queue_ptr 0
		.amdhsa_user_sgpr_kernarg_segment_ptr 1
		.amdhsa_user_sgpr_dispatch_id 0
		.amdhsa_user_sgpr_private_segment_size 0
		.amdhsa_wavefront_size32 1
		.amdhsa_uses_dynamic_stack 0
		.amdhsa_enable_private_segment 0
		.amdhsa_system_sgpr_workgroup_id_x 1
		.amdhsa_system_sgpr_workgroup_id_y 0
		.amdhsa_system_sgpr_workgroup_id_z 0
		.amdhsa_system_sgpr_workgroup_info 0
		.amdhsa_system_vgpr_workitem_id 0
		.amdhsa_next_free_vgpr 21
		.amdhsa_next_free_sgpr 8
		.amdhsa_reserve_vcc 1
		.amdhsa_float_round_mode_32 0
		.amdhsa_float_round_mode_16_64 0
		.amdhsa_float_denorm_mode_32 3
		.amdhsa_float_denorm_mode_16_64 3
		.amdhsa_fp16_overflow 0
		.amdhsa_workgroup_processor_mode 1
		.amdhsa_memory_ordered 1
		.amdhsa_forward_progress 1
		.amdhsa_inst_pref_size 5
		.amdhsa_round_robin_scheduling 0
		.amdhsa_exception_fp_ieee_invalid_op 0
		.amdhsa_exception_fp_denorm_src 0
		.amdhsa_exception_fp_ieee_div_zero 0
		.amdhsa_exception_fp_ieee_overflow 0
		.amdhsa_exception_fp_ieee_underflow 0
		.amdhsa_exception_fp_ieee_inexact 0
		.amdhsa_exception_int_div_zero 0
	.end_amdhsa_kernel
	.section	.text._ZL24dequantize_block_iq2_xxsIfEvPKvPT_,"axG",@progbits,_ZL24dequantize_block_iq2_xxsIfEvPKvPT_,comdat
.Lfunc_end27:
	.size	_ZL24dequantize_block_iq2_xxsIfEvPKvPT_, .Lfunc_end27-_ZL24dequantize_block_iq2_xxsIfEvPKvPT_
                                        ; -- End function
	.set _ZL24dequantize_block_iq2_xxsIfEvPKvPT_.num_vgpr, 21
	.set _ZL24dequantize_block_iq2_xxsIfEvPKvPT_.num_agpr, 0
	.set _ZL24dequantize_block_iq2_xxsIfEvPKvPT_.numbered_sgpr, 8
	.set _ZL24dequantize_block_iq2_xxsIfEvPKvPT_.num_named_barrier, 0
	.set _ZL24dequantize_block_iq2_xxsIfEvPKvPT_.private_seg_size, 0
	.set _ZL24dequantize_block_iq2_xxsIfEvPKvPT_.uses_vcc, 1
	.set _ZL24dequantize_block_iq2_xxsIfEvPKvPT_.uses_flat_scratch, 0
	.set _ZL24dequantize_block_iq2_xxsIfEvPKvPT_.has_dyn_sized_stack, 0
	.set _ZL24dequantize_block_iq2_xxsIfEvPKvPT_.has_recursion, 0
	.set _ZL24dequantize_block_iq2_xxsIfEvPKvPT_.has_indirect_call, 0
	.section	.AMDGPU.csdata,"",@progbits
; Kernel info:
; codeLenInByte = 608
; TotalNumSgprs: 10
; NumVgprs: 21
; ScratchSize: 0
; MemoryBound: 0
; FloatMode: 240
; IeeeMode: 1
; LDSByteSize: 0 bytes/workgroup (compile time only)
; SGPRBlocks: 0
; VGPRBlocks: 2
; NumSGPRsForWavesPerEU: 10
; NumVGPRsForWavesPerEU: 21
; Occupancy: 16
; WaveLimiterHint : 0
; COMPUTE_PGM_RSRC2:SCRATCH_EN: 0
; COMPUTE_PGM_RSRC2:USER_SGPR: 2
; COMPUTE_PGM_RSRC2:TRAP_HANDLER: 0
; COMPUTE_PGM_RSRC2:TGID_X_EN: 1
; COMPUTE_PGM_RSRC2:TGID_Y_EN: 0
; COMPUTE_PGM_RSRC2:TGID_Z_EN: 0
; COMPUTE_PGM_RSRC2:TIDIG_COMP_CNT: 0
	.section	.text._ZL23dequantize_block_iq2_xsIfEvPKvPT_,"axG",@progbits,_ZL23dequantize_block_iq2_xsIfEvPKvPT_,comdat
	.globl	_ZL23dequantize_block_iq2_xsIfEvPKvPT_ ; -- Begin function _ZL23dequantize_block_iq2_xsIfEvPKvPT_
	.p2align	8
	.type	_ZL23dequantize_block_iq2_xsIfEvPKvPT_,@function
_ZL23dequantize_block_iq2_xsIfEvPKvPT_: ; @_ZL23dequantize_block_iq2_xsIfEvPKvPT_
; %bb.0:
	s_load_b128 s[0:3], s[0:1], 0x0
	v_and_b32_e32 v3, 7, v0
	s_mov_b32 s4, ttmp9
	s_mov_b32 s5, 0
	v_lshrrev_b32_e32 v4, 2, v0
	s_mul_u64 s[6:7], s[4:5], 0x4a
	v_lshlrev_b32_e32 v1, 3, v3
	v_and_b32_e32 v0, 0x3f8, v0
	s_delay_alu instid0(VALU_DEP_3) | instskip(SKIP_1) | instid1(VALU_DEP_3)
	v_and_b32_e32 v2, 0xfe, v4
	v_and_b32_e32 v4, 0xfc, v4
	v_lshlrev_b32_e32 v0, 2, v0
	s_wait_kmcnt 0x0
	s_add_nc_u64 s[0:1], s[0:1], s[6:7]
	s_delay_alu instid0(SALU_CYCLE_1) | instskip(NEXT) | instid1(VALU_DEP_1)
	v_add_co_u32 v1, s6, s0, v1
	v_add_co_ci_u32_e64 v5, null, s1, 0, s6
	s_delay_alu instid0(VALU_DEP_2) | instskip(NEXT) | instid1(VALU_DEP_1)
	v_add_co_u32 v1, vcc_lo, v1, v2
	v_add_co_ci_u32_e64 v2, null, 0, v5, vcc_lo
	global_load_u16 v6, v[1:2], off offset:2
	v_mov_b32_e32 v1, 0
	s_clause 0x1
	global_load_u16 v5, v1, s[0:1]
	global_load_u8 v7, v3, s[0:1] offset:66
	s_getpc_b64 s[0:1]
	s_wait_alu 0xfffe
	s_sext_i32_i16 s1, s1
	s_add_co_u32 s0, s0, _ZL12ksigns_iq2xs@rel32@lo+12
	s_wait_alu 0xfffe
	s_add_co_ci_u32 s1, s1, _ZL12ksigns_iq2xs@rel32@hi+24
	s_getpc_b64 s[6:7]
	s_wait_alu 0xfffe
	s_sext_i32_i16 s7, s7
	s_add_co_u32 s6, s6, _ZL10iq2xs_grid@rel32@lo+12
	s_wait_alu 0xfffe
	s_add_co_ci_u32 s7, s7, _ZL10iq2xs_grid@rel32@hi+24
	s_wait_loadcnt 0x2
	v_and_b32_e32 v1, 0xffff, v6
	s_wait_loadcnt 0x1
	v_cvt_f32_f16_e32 v5, v5
	s_wait_loadcnt 0x0
	v_bfe_u32 v4, v7, v4, 4
	v_lshrrev_b32_e32 v1, 9, v1
	s_delay_alu instid0(VALU_DEP_2)
	v_cvt_f32_ubyte0_e32 v4, v4
	global_load_i8 v10, v1, s[0:1]
	s_lshl_b64 s[0:1], s[4:5], 10
	s_wait_alu 0xfffe
	s_add_nc_u64 s[0:1], s[2:3], s[0:1]
	v_add_f32_e32 v4, 0.5, v4
	s_delay_alu instid0(VALU_DEP_1) | instskip(SKIP_1) | instid1(VALU_DEP_1)
	v_dual_mul_f32 v4, v4, v5 :: v_dual_lshlrev_b32 v3, 7, v3
	s_wait_alu 0xfffe
	v_add_co_u32 v3, s0, s0, v3
	s_wait_alu 0xf1ff
	v_add_co_ci_u32_e64 v7, null, s1, 0, s0
	s_delay_alu instid0(VALU_DEP_2) | instskip(SKIP_4) | instid1(VALU_DEP_2)
	v_add_co_u32 v8, vcc_lo, v3, v0
	v_mul_f32_e32 v0, 0x3e800000, v4
	v_and_b32_e32 v2, 0x1ff, v6
	s_wait_alu 0xfffd
	v_add_co_ci_u32_e64 v9, null, 0, v7, vcc_lo
	v_and_b32_e32 v2, 0xffff, v2
	s_delay_alu instid0(VALU_DEP_1)
	v_lshlrev_b32_e32 v1, 3, v2
	global_load_b64 v[1:2], v1, s[6:7]
	s_wait_loadcnt 0x1
	v_and_b32_e32 v3, 1, v10
	v_and_b32_e32 v5, 4, v10
	;; [unrolled: 1-line block ×5, first 2 shown]
	v_cmp_eq_u16_e32 vcc_lo, 0, v3
	s_wait_loadcnt 0x0
	v_cvt_f32_ubyte0_e32 v13, v1
	v_cvt_f32_ubyte1_e32 v14, v1
	v_cvt_f32_ubyte2_e32 v15, v1
	v_cvt_f32_ubyte3_e32 v1, v1
	v_cvt_f32_ubyte0_e32 v16, v2
	v_cvt_f32_ubyte1_e32 v17, v2
	v_and_b32_e32 v4, 2, v10
	v_cvt_f32_ubyte2_e32 v18, v2
	v_cvt_f32_ubyte3_e32 v2, v2
	v_mul_f32_e32 v13, v0, v13
	v_mul_f32_e32 v14, v0, v14
	v_mul_f32_e32 v15, v0, v15
	v_mul_f32_e32 v19, v0, v1
	v_mul_f32_e32 v16, v0, v16
	v_mul_f32_e32 v17, v0, v17
	v_mul_f32_e32 v18, v0, v18
	v_mul_f32_e32 v20, v0, v2
	s_wait_alu 0xfffd
	v_cndmask_b32_e64 v0, -v13, v13, vcc_lo
	v_cmp_eq_u16_e32 vcc_lo, 0, v4
	s_wait_alu 0xfffd
	v_cndmask_b32_e64 v1, -v14, v14, vcc_lo
	v_cmp_eq_u16_e32 vcc_lo, 0, v5
	;; [unrolled: 3-line block ×5, first 2 shown]
	s_wait_alu 0xfffd
	v_cndmask_b32_e64 v5, -v17, v17, vcc_lo
	v_cmp_gt_i16_e32 vcc_lo, 0, v6
	s_wait_alu 0xfffd
	v_cndmask_b32_e64 v6, v18, -v18, vcc_lo
	v_cmp_gt_i16_e32 vcc_lo, 0, v10
	s_wait_alu 0xfffd
	v_cndmask_b32_e64 v7, v20, -v20, vcc_lo
	s_clause 0x1
	global_store_b128 v[8:9], v[0:3], off
	global_store_b128 v[8:9], v[4:7], off offset:16
	s_endpgm
	.section	.rodata,"a",@progbits
	.p2align	6, 0x0
	.amdhsa_kernel _ZL23dequantize_block_iq2_xsIfEvPKvPT_
		.amdhsa_group_segment_fixed_size 0
		.amdhsa_private_segment_fixed_size 0
		.amdhsa_kernarg_size 16
		.amdhsa_user_sgpr_count 2
		.amdhsa_user_sgpr_dispatch_ptr 0
		.amdhsa_user_sgpr_queue_ptr 0
		.amdhsa_user_sgpr_kernarg_segment_ptr 1
		.amdhsa_user_sgpr_dispatch_id 0
		.amdhsa_user_sgpr_private_segment_size 0
		.amdhsa_wavefront_size32 1
		.amdhsa_uses_dynamic_stack 0
		.amdhsa_enable_private_segment 0
		.amdhsa_system_sgpr_workgroup_id_x 1
		.amdhsa_system_sgpr_workgroup_id_y 0
		.amdhsa_system_sgpr_workgroup_id_z 0
		.amdhsa_system_sgpr_workgroup_info 0
		.amdhsa_system_vgpr_workitem_id 0
		.amdhsa_next_free_vgpr 21
		.amdhsa_next_free_sgpr 8
		.amdhsa_reserve_vcc 1
		.amdhsa_float_round_mode_32 0
		.amdhsa_float_round_mode_16_64 0
		.amdhsa_float_denorm_mode_32 3
		.amdhsa_float_denorm_mode_16_64 3
		.amdhsa_fp16_overflow 0
		.amdhsa_workgroup_processor_mode 1
		.amdhsa_memory_ordered 1
		.amdhsa_forward_progress 1
		.amdhsa_inst_pref_size 6
		.amdhsa_round_robin_scheduling 0
		.amdhsa_exception_fp_ieee_invalid_op 0
		.amdhsa_exception_fp_denorm_src 0
		.amdhsa_exception_fp_ieee_div_zero 0
		.amdhsa_exception_fp_ieee_overflow 0
		.amdhsa_exception_fp_ieee_underflow 0
		.amdhsa_exception_fp_ieee_inexact 0
		.amdhsa_exception_int_div_zero 0
	.end_amdhsa_kernel
	.section	.text._ZL23dequantize_block_iq2_xsIfEvPKvPT_,"axG",@progbits,_ZL23dequantize_block_iq2_xsIfEvPKvPT_,comdat
.Lfunc_end28:
	.size	_ZL23dequantize_block_iq2_xsIfEvPKvPT_, .Lfunc_end28-_ZL23dequantize_block_iq2_xsIfEvPKvPT_
                                        ; -- End function
	.set _ZL23dequantize_block_iq2_xsIfEvPKvPT_.num_vgpr, 21
	.set _ZL23dequantize_block_iq2_xsIfEvPKvPT_.num_agpr, 0
	.set _ZL23dequantize_block_iq2_xsIfEvPKvPT_.numbered_sgpr, 8
	.set _ZL23dequantize_block_iq2_xsIfEvPKvPT_.num_named_barrier, 0
	.set _ZL23dequantize_block_iq2_xsIfEvPKvPT_.private_seg_size, 0
	.set _ZL23dequantize_block_iq2_xsIfEvPKvPT_.uses_vcc, 1
	.set _ZL23dequantize_block_iq2_xsIfEvPKvPT_.uses_flat_scratch, 0
	.set _ZL23dequantize_block_iq2_xsIfEvPKvPT_.has_dyn_sized_stack, 0
	.set _ZL23dequantize_block_iq2_xsIfEvPKvPT_.has_recursion, 0
	.set _ZL23dequantize_block_iq2_xsIfEvPKvPT_.has_indirect_call, 0
	.section	.AMDGPU.csdata,"",@progbits
; Kernel info:
; codeLenInByte = 656
; TotalNumSgprs: 10
; NumVgprs: 21
; ScratchSize: 0
; MemoryBound: 0
; FloatMode: 240
; IeeeMode: 1
; LDSByteSize: 0 bytes/workgroup (compile time only)
; SGPRBlocks: 0
; VGPRBlocks: 2
; NumSGPRsForWavesPerEU: 10
; NumVGPRsForWavesPerEU: 21
; Occupancy: 16
; WaveLimiterHint : 0
; COMPUTE_PGM_RSRC2:SCRATCH_EN: 0
; COMPUTE_PGM_RSRC2:USER_SGPR: 2
; COMPUTE_PGM_RSRC2:TRAP_HANDLER: 0
; COMPUTE_PGM_RSRC2:TGID_X_EN: 1
; COMPUTE_PGM_RSRC2:TGID_Y_EN: 0
; COMPUTE_PGM_RSRC2:TGID_Z_EN: 0
; COMPUTE_PGM_RSRC2:TIDIG_COMP_CNT: 0
	.section	.text._ZL22dequantize_block_iq2_sIfEvPKvPT_,"axG",@progbits,_ZL22dequantize_block_iq2_sIfEvPKvPT_,comdat
	.globl	_ZL22dequantize_block_iq2_sIfEvPKvPT_ ; -- Begin function _ZL22dequantize_block_iq2_sIfEvPKvPT_
	.p2align	8
	.type	_ZL22dequantize_block_iq2_sIfEvPKvPT_,@function
_ZL22dequantize_block_iq2_sIfEvPKvPT_:  ; @_ZL22dequantize_block_iq2_sIfEvPKvPT_
; %bb.0:
	s_load_b128 s[0:3], s[0:1], 0x0
	v_and_b32_e32 v3, 7, v0
	s_mov_b32 s4, ttmp9
	s_mov_b32 s5, 0
	v_lshrrev_b32_e32 v4, 3, v0
	s_mul_u64 s[6:7], s[4:5], 0x52
	v_lshlrev_b32_e32 v1, 2, v3
	s_wait_kmcnt 0x0
	s_add_nc_u64 s[0:1], s[0:1], s[6:7]
	s_delay_alu instid0(VALU_DEP_1) | instid1(SALU_CYCLE_1)
	v_add_co_u32 v1, s6, s0, v1
	s_delay_alu instid0(VALU_DEP_1) | instskip(NEXT) | instid1(VALU_DEP_2)
	v_add_co_ci_u32_e64 v2, null, s1, 0, s6
	v_add_co_u32 v1, vcc_lo, v1, v4
	s_delay_alu instid0(VALU_DEP_1)
	v_add_co_ci_u32_e64 v2, null, 0, v2, vcc_lo
	v_lshlrev_b32_e32 v4, 1, v4
	s_clause 0x3
	global_load_u8 v5, v3, s[0:1] offset:66
	global_load_u8 v6, v[1:2], off offset:2
	global_load_i8 v7, v[1:2], off offset:34
	global_load_u8 v8, v3, s[0:1] offset:74
	v_mov_b32_e32 v1, 0
	v_sub_nc_u32_e32 v2, 8, v4
	global_load_u16 v4, v1, s[0:1]
	s_getpc_b64 s[0:1]
	s_wait_alu 0xfffe
	s_sext_i32_i16 s1, s1
	s_add_co_u32 s0, s0, _ZL9iq2s_grid@rel32@lo+12
	s_wait_alu 0xfffe
	s_add_co_ci_u32 s1, s1, _ZL9iq2s_grid@rel32@hi+24
	s_wait_loadcnt 0x4
	v_lshlrev_b32_e32 v1, v2, v5
	v_lshrrev_b32_e32 v5, 2, v0
	s_wait_loadcnt 0x2
	v_and_b32_e32 v10, 16, v7
	v_and_b32_e32 v11, 32, v7
	;; [unrolled: 1-line block ×4, first 2 shown]
	s_wait_loadcnt 0x0
	v_cvt_f32_f16_e32 v4, v4
	s_delay_alu instid0(VALU_DEP_2) | instskip(NEXT) | instid1(VALU_DEP_1)
	v_bfe_u32 v5, v8, v5, 4
	v_cvt_f32_ubyte0_e32 v5, v5
	s_delay_alu instid0(VALU_DEP_1) | instskip(NEXT) | instid1(VALU_DEP_1)
	v_dual_add_f32 v5, 0.5, v5 :: v_dual_and_b32 v0, 0x3f8, v0
	v_dual_mul_f32 v4, v5, v4 :: v_dual_and_b32 v5, 8, v7
	s_delay_alu instid0(VALU_DEP_1) | instskip(SKIP_1) | instid1(VALU_DEP_1)
	v_mul_f32_e32 v4, 0x3e800000, v4
	v_and_or_b32 v1, 0x300, v1, v6
	v_lshlrev_b32_e32 v1, 3, v1
	global_load_b64 v[1:2], v1, s[0:1]
	s_lshl_b64 s[0:1], s[4:5], 10
	s_wait_alu 0xfffe
	s_add_nc_u64 s[0:1], s[2:3], s[0:1]
	s_wait_loadcnt 0x0
	v_cvt_f32_ubyte1_e32 v14, v1
	v_cvt_f32_ubyte0_e32 v16, v2
	v_cvt_f32_ubyte1_e32 v17, v2
	v_cvt_f32_ubyte2_e32 v18, v2
	v_cvt_f32_ubyte3_e32 v2, v2
	v_dual_mul_f32 v14, v4, v14 :: v_dual_lshlrev_b32 v3, 7, v3
	v_cvt_f32_ubyte0_e32 v13, v1
	v_lshlrev_b32_e32 v0, 2, v0
	s_delay_alu instid0(VALU_DEP_4)
	v_mul_f32_e32 v20, v4, v2
	v_cvt_f32_ubyte2_e32 v15, v1
	s_wait_alu 0xfffe
	v_add_co_u32 v3, s0, s0, v3
	s_wait_alu 0xf1ff
	v_add_co_ci_u32_e64 v6, null, s1, 0, s0
	v_cvt_f32_ubyte3_e32 v1, v1
	v_mul_f32_e32 v13, v4, v13
	v_add_co_u32 v8, vcc_lo, v3, v0
	s_delay_alu instid0(VALU_DEP_3) | instskip(SKIP_3) | instid1(VALU_DEP_3)
	v_dual_mul_f32 v19, v4, v1 :: v_dual_and_b32 v0, 1, v7
	s_wait_alu 0xfffd
	v_add_co_ci_u32_e64 v9, null, 0, v6, vcc_lo
	v_and_b32_e32 v3, 2, v7
	v_cmp_eq_u16_e32 vcc_lo, 0, v0
	v_dual_mul_f32 v17, v4, v17 :: v_dual_and_b32 v6, 4, v7
	v_mul_f32_e32 v15, v4, v15
	v_mul_f32_e32 v16, v4, v16
	s_wait_alu 0xfffd
	v_cndmask_b32_e64 v0, -v13, v13, vcc_lo
	v_cmp_eq_u16_e32 vcc_lo, 0, v3
	v_mul_f32_e32 v18, v4, v18
	s_wait_alu 0xfffd
	v_cndmask_b32_e64 v1, -v14, v14, vcc_lo
	v_cmp_eq_u16_e32 vcc_lo, 0, v6
	s_wait_alu 0xfffd
	v_cndmask_b32_e64 v2, -v15, v15, vcc_lo
	v_cmp_eq_u16_e32 vcc_lo, 0, v5
	;; [unrolled: 3-line block ×5, first 2 shown]
	s_wait_alu 0xfffd
	v_cndmask_b32_e64 v6, -v18, v18, vcc_lo
	v_cmp_gt_i16_e32 vcc_lo, 0, v7
	s_wait_alu 0xfffd
	v_cndmask_b32_e64 v7, v20, -v20, vcc_lo
	s_clause 0x1
	global_store_b128 v[8:9], v[0:3], off
	global_store_b128 v[8:9], v[4:7], off offset:16
	s_endpgm
	.section	.rodata,"a",@progbits
	.p2align	6, 0x0
	.amdhsa_kernel _ZL22dequantize_block_iq2_sIfEvPKvPT_
		.amdhsa_group_segment_fixed_size 0
		.amdhsa_private_segment_fixed_size 0
		.amdhsa_kernarg_size 16
		.amdhsa_user_sgpr_count 2
		.amdhsa_user_sgpr_dispatch_ptr 0
		.amdhsa_user_sgpr_queue_ptr 0
		.amdhsa_user_sgpr_kernarg_segment_ptr 1
		.amdhsa_user_sgpr_dispatch_id 0
		.amdhsa_user_sgpr_private_segment_size 0
		.amdhsa_wavefront_size32 1
		.amdhsa_uses_dynamic_stack 0
		.amdhsa_enable_private_segment 0
		.amdhsa_system_sgpr_workgroup_id_x 1
		.amdhsa_system_sgpr_workgroup_id_y 0
		.amdhsa_system_sgpr_workgroup_id_z 0
		.amdhsa_system_sgpr_workgroup_info 0
		.amdhsa_system_vgpr_workitem_id 0
		.amdhsa_next_free_vgpr 21
		.amdhsa_next_free_sgpr 8
		.amdhsa_reserve_vcc 1
		.amdhsa_float_round_mode_32 0
		.amdhsa_float_round_mode_16_64 0
		.amdhsa_float_denorm_mode_32 3
		.amdhsa_float_denorm_mode_16_64 3
		.amdhsa_fp16_overflow 0
		.amdhsa_workgroup_processor_mode 1
		.amdhsa_memory_ordered 1
		.amdhsa_forward_progress 1
		.amdhsa_inst_pref_size 5
		.amdhsa_round_robin_scheduling 0
		.amdhsa_exception_fp_ieee_invalid_op 0
		.amdhsa_exception_fp_denorm_src 0
		.amdhsa_exception_fp_ieee_div_zero 0
		.amdhsa_exception_fp_ieee_overflow 0
		.amdhsa_exception_fp_ieee_underflow 0
		.amdhsa_exception_fp_ieee_inexact 0
		.amdhsa_exception_int_div_zero 0
	.end_amdhsa_kernel
	.section	.text._ZL22dequantize_block_iq2_sIfEvPKvPT_,"axG",@progbits,_ZL22dequantize_block_iq2_sIfEvPKvPT_,comdat
.Lfunc_end29:
	.size	_ZL22dequantize_block_iq2_sIfEvPKvPT_, .Lfunc_end29-_ZL22dequantize_block_iq2_sIfEvPKvPT_
                                        ; -- End function
	.set _ZL22dequantize_block_iq2_sIfEvPKvPT_.num_vgpr, 21
	.set _ZL22dequantize_block_iq2_sIfEvPKvPT_.num_agpr, 0
	.set _ZL22dequantize_block_iq2_sIfEvPKvPT_.numbered_sgpr, 8
	.set _ZL22dequantize_block_iq2_sIfEvPKvPT_.num_named_barrier, 0
	.set _ZL22dequantize_block_iq2_sIfEvPKvPT_.private_seg_size, 0
	.set _ZL22dequantize_block_iq2_sIfEvPKvPT_.uses_vcc, 1
	.set _ZL22dequantize_block_iq2_sIfEvPKvPT_.uses_flat_scratch, 0
	.set _ZL22dequantize_block_iq2_sIfEvPKvPT_.has_dyn_sized_stack, 0
	.set _ZL22dequantize_block_iq2_sIfEvPKvPT_.has_recursion, 0
	.set _ZL22dequantize_block_iq2_sIfEvPKvPT_.has_indirect_call, 0
	.section	.AMDGPU.csdata,"",@progbits
; Kernel info:
; codeLenInByte = 632
; TotalNumSgprs: 10
; NumVgprs: 21
; ScratchSize: 0
; MemoryBound: 0
; FloatMode: 240
; IeeeMode: 1
; LDSByteSize: 0 bytes/workgroup (compile time only)
; SGPRBlocks: 0
; VGPRBlocks: 2
; NumSGPRsForWavesPerEU: 10
; NumVGPRsForWavesPerEU: 21
; Occupancy: 16
; WaveLimiterHint : 0
; COMPUTE_PGM_RSRC2:SCRATCH_EN: 0
; COMPUTE_PGM_RSRC2:USER_SGPR: 2
; COMPUTE_PGM_RSRC2:TRAP_HANDLER: 0
; COMPUTE_PGM_RSRC2:TGID_X_EN: 1
; COMPUTE_PGM_RSRC2:TGID_Y_EN: 0
; COMPUTE_PGM_RSRC2:TGID_Z_EN: 0
; COMPUTE_PGM_RSRC2:TIDIG_COMP_CNT: 0
	.section	.text._ZL24dequantize_block_iq3_xxsIfEvPKvPT_,"axG",@progbits,_ZL24dequantize_block_iq3_xxsIfEvPKvPT_,comdat
	.globl	_ZL24dequantize_block_iq3_xxsIfEvPKvPT_ ; -- Begin function _ZL24dequantize_block_iq3_xxsIfEvPKvPT_
	.p2align	8
	.type	_ZL24dequantize_block_iq3_xxsIfEvPKvPT_,@function
_ZL24dequantize_block_iq3_xxsIfEvPKvPT_: ; @_ZL24dequantize_block_iq3_xxsIfEvPKvPT_
; %bb.0:
	s_load_b128 s[0:3], s[0:1], 0x0
	v_and_b32_e32 v5, 7, v0
	s_mov_b32 s4, ttmp9
	s_mov_b32 s5, 0
	v_lshrrev_b32_e32 v6, 3, v0
	s_mul_u64 s[6:7], s[4:5], 0x62
	v_lshlrev_b32_e32 v1, 3, v5
	v_dual_mov_b32 v7, 0 :: v_dual_lshlrev_b32 v2, 2, v5
	s_delay_alu instid0(VALU_DEP_3) | instskip(SKIP_2) | instid1(SALU_CYCLE_1)
	v_lshlrev_b32_e32 v3, 1, v6
	s_wait_kmcnt 0x0
	s_add_nc_u64 s[0:1], s[0:1], s[6:7]
	v_add_co_u32 v4, s6, s0, v1
	s_delay_alu instid0(VALU_DEP_1) | instskip(SKIP_4) | instid1(VALU_DEP_1)
	v_add_co_ci_u32_e64 v8, null, s1, 0, s6
	v_sub_co_u32 v9, s6, 0, v2
	s_wait_alu 0xf1ff
	v_sub_co_ci_u32_e64 v10, null, 0, 0, s6
	v_add_co_u32 v1, vcc_lo, v4, v3
	v_add_co_ci_u32_e64 v2, null, 0, v8, vcc_lo
	v_add_co_u32 v3, vcc_lo, v4, v9
	s_wait_alu 0xfffd
	v_add_co_ci_u32_e64 v4, null, v8, v10, vcc_lo
	s_clause 0x2
	global_load_u16 v1, v[1:2], off offset:2
	global_load_u16 v2, v7, s[0:1]
	global_load_b32 v3, v[3:4], off offset:66
	v_mul_u32_u24_e32 v4, 7, v6
	s_getpc_b64 s[0:1]
	s_wait_alu 0xfffe
	s_sext_i32_i16 s1, s1
	s_add_co_u32 s0, s0, _ZL12ksigns_iq2xs@rel32@lo+12
	s_wait_alu 0xfffe
	s_add_co_ci_u32 s1, s1, _ZL12ksigns_iq2xs@rel32@hi+24
	s_getpc_b64 s[6:7]
	s_wait_alu 0xfffe
	s_sext_i32_i16 s7, s7
	s_add_co_u32 s6, s6, _ZL11iq3xxs_grid@rel32@lo+12
	s_wait_alu 0xfffe
	s_add_co_ci_u32 s7, s7, _ZL11iq3xxs_grid@rel32@hi+24
	s_wait_loadcnt 0x1
	v_cvt_f32_f16_e32 v2, v2
	s_wait_loadcnt 0x0
	v_bfe_u32 v7, v3, v4, 7
	v_lshrrev_b32_e32 v3, 28, v3
	global_load_i8 v10, v7, s[0:1]
	v_cvt_f32_ubyte0_e32 v3, v3
	v_and_b32_e32 v6, 0xff, v1
	s_lshl_b64 s[0:1], s[4:5], 10
	v_lshrrev_b16 v1, 8, v1
	s_wait_alu 0xfffe
	s_add_nc_u64 s[0:1], s[2:3], s[0:1]
	v_add_f32_e32 v3, 0.5, v3
	s_delay_alu instid0(VALU_DEP_1) | instskip(SKIP_2) | instid1(VALU_DEP_2)
	v_mul_f32_e32 v2, v3, v2
	v_and_b32_e32 v0, 0x3f8, v0
	v_lshlrev_b32_e32 v5, 7, v5
	v_lshlrev_b32_e32 v0, 2, v0
	s_wait_alu 0xfffe
	s_delay_alu instid0(VALU_DEP_2) | instskip(NEXT) | instid1(VALU_DEP_1)
	v_add_co_u32 v5, s0, s0, v5
	v_add_co_u32 v8, vcc_lo, v5, v0
	v_mul_f32_e32 v5, 0.5, v2
	v_and_b32_e32 v1, 0xffff, v1
	v_lshlrev_b32_e32 v4, 2, v6
	s_wait_alu 0xf1ff
	v_add_co_ci_u32_e64 v6, null, s1, 0, s0
	s_delay_alu instid0(VALU_DEP_3)
	v_lshlrev_b32_e32 v1, 2, v1
	global_load_b32 v4, v4, s[6:7]
	s_wait_alu 0xfffd
	v_add_co_ci_u32_e64 v9, null, 0, v6, vcc_lo
	global_load_b32 v1, v1, s[6:7]
	s_wait_loadcnt 0x2
	v_and_b32_e32 v2, 2, v10
	v_and_b32_e32 v3, 4, v10
	;; [unrolled: 1-line block ×4, first 2 shown]
	s_wait_loadcnt 0x1
	v_cvt_f32_ubyte0_e32 v12, v4
	v_cvt_f32_ubyte1_e32 v14, v4
	v_cvt_f32_ubyte2_e32 v15, v4
	v_cvt_f32_ubyte3_e32 v4, v4
	s_wait_loadcnt 0x0
	v_cvt_f32_ubyte3_e32 v19, v1
	v_and_b32_e32 v0, 1, v10
	v_mul_f32_e32 v12, v5, v12
	v_mul_f32_e32 v14, v5, v14
	v_cvt_f32_ubyte0_e32 v16, v1
	v_cvt_f32_ubyte1_e32 v17, v1
	v_cmp_eq_u16_e32 vcc_lo, 0, v0
	v_mul_f32_e32 v15, v5, v15
	v_cvt_f32_ubyte2_e32 v18, v1
	v_dual_mul_f32 v4, v5, v4 :: v_dual_and_b32 v11, 32, v10
	s_wait_alu 0xfffd
	v_cndmask_b32_e64 v0, -v12, v12, vcc_lo
	v_cmp_eq_u16_e32 vcc_lo, 0, v2
	v_mul_f32_e32 v12, v5, v16
	s_wait_alu 0xfffd
	v_cndmask_b32_e64 v1, -v14, v14, vcc_lo
	v_cmp_eq_u16_e32 vcc_lo, 0, v3
	v_mul_f32_e32 v14, v5, v17
	;; [unrolled: 4-line block ×3, first 2 shown]
	v_mul_f32_e32 v13, v5, v19
	s_wait_alu 0xfffd
	v_cndmask_b32_e64 v3, -v4, v4, vcc_lo
	v_cmp_eq_u16_e32 vcc_lo, 0, v6
	s_wait_alu 0xfffd
	v_cndmask_b32_e64 v4, -v12, v12, vcc_lo
	v_cmp_eq_u16_e32 vcc_lo, 0, v11
	s_wait_alu 0xfffd
	v_cndmask_b32_e64 v5, -v14, v14, vcc_lo
	v_cmp_gt_u32_e32 vcc_lo, 64, v7
	s_wait_alu 0xfffd
	v_cndmask_b32_e64 v6, -v15, v15, vcc_lo
	v_cmp_gt_i16_e32 vcc_lo, 0, v10
	s_wait_alu 0xfffd
	v_cndmask_b32_e64 v7, v13, -v13, vcc_lo
	s_clause 0x1
	global_store_b128 v[8:9], v[0:3], off
	global_store_b128 v[8:9], v[4:7], off offset:16
	s_endpgm
	.section	.rodata,"a",@progbits
	.p2align	6, 0x0
	.amdhsa_kernel _ZL24dequantize_block_iq3_xxsIfEvPKvPT_
		.amdhsa_group_segment_fixed_size 0
		.amdhsa_private_segment_fixed_size 0
		.amdhsa_kernarg_size 16
		.amdhsa_user_sgpr_count 2
		.amdhsa_user_sgpr_dispatch_ptr 0
		.amdhsa_user_sgpr_queue_ptr 0
		.amdhsa_user_sgpr_kernarg_segment_ptr 1
		.amdhsa_user_sgpr_dispatch_id 0
		.amdhsa_user_sgpr_private_segment_size 0
		.amdhsa_wavefront_size32 1
		.amdhsa_uses_dynamic_stack 0
		.amdhsa_enable_private_segment 0
		.amdhsa_system_sgpr_workgroup_id_x 1
		.amdhsa_system_sgpr_workgroup_id_y 0
		.amdhsa_system_sgpr_workgroup_id_z 0
		.amdhsa_system_sgpr_workgroup_info 0
		.amdhsa_system_vgpr_workitem_id 0
		.amdhsa_next_free_vgpr 20
		.amdhsa_next_free_sgpr 8
		.amdhsa_reserve_vcc 1
		.amdhsa_float_round_mode_32 0
		.amdhsa_float_round_mode_16_64 0
		.amdhsa_float_denorm_mode_32 3
		.amdhsa_float_denorm_mode_16_64 3
		.amdhsa_fp16_overflow 0
		.amdhsa_workgroup_processor_mode 1
		.amdhsa_memory_ordered 1
		.amdhsa_forward_progress 1
		.amdhsa_inst_pref_size 6
		.amdhsa_round_robin_scheduling 0
		.amdhsa_exception_fp_ieee_invalid_op 0
		.amdhsa_exception_fp_denorm_src 0
		.amdhsa_exception_fp_ieee_div_zero 0
		.amdhsa_exception_fp_ieee_overflow 0
		.amdhsa_exception_fp_ieee_underflow 0
		.amdhsa_exception_fp_ieee_inexact 0
		.amdhsa_exception_int_div_zero 0
	.end_amdhsa_kernel
	.section	.text._ZL24dequantize_block_iq3_xxsIfEvPKvPT_,"axG",@progbits,_ZL24dequantize_block_iq3_xxsIfEvPKvPT_,comdat
.Lfunc_end30:
	.size	_ZL24dequantize_block_iq3_xxsIfEvPKvPT_, .Lfunc_end30-_ZL24dequantize_block_iq3_xxsIfEvPKvPT_
                                        ; -- End function
	.set _ZL24dequantize_block_iq3_xxsIfEvPKvPT_.num_vgpr, 20
	.set _ZL24dequantize_block_iq3_xxsIfEvPKvPT_.num_agpr, 0
	.set _ZL24dequantize_block_iq3_xxsIfEvPKvPT_.numbered_sgpr, 8
	.set _ZL24dequantize_block_iq3_xxsIfEvPKvPT_.num_named_barrier, 0
	.set _ZL24dequantize_block_iq3_xxsIfEvPKvPT_.private_seg_size, 0
	.set _ZL24dequantize_block_iq3_xxsIfEvPKvPT_.uses_vcc, 1
	.set _ZL24dequantize_block_iq3_xxsIfEvPKvPT_.uses_flat_scratch, 0
	.set _ZL24dequantize_block_iq3_xxsIfEvPKvPT_.has_dyn_sized_stack, 0
	.set _ZL24dequantize_block_iq3_xxsIfEvPKvPT_.has_recursion, 0
	.set _ZL24dequantize_block_iq3_xxsIfEvPKvPT_.has_indirect_call, 0
	.section	.AMDGPU.csdata,"",@progbits
; Kernel info:
; codeLenInByte = 696
; TotalNumSgprs: 10
; NumVgprs: 20
; ScratchSize: 0
; MemoryBound: 0
; FloatMode: 240
; IeeeMode: 1
; LDSByteSize: 0 bytes/workgroup (compile time only)
; SGPRBlocks: 0
; VGPRBlocks: 2
; NumSGPRsForWavesPerEU: 10
; NumVGPRsForWavesPerEU: 20
; Occupancy: 16
; WaveLimiterHint : 0
; COMPUTE_PGM_RSRC2:SCRATCH_EN: 0
; COMPUTE_PGM_RSRC2:USER_SGPR: 2
; COMPUTE_PGM_RSRC2:TRAP_HANDLER: 0
; COMPUTE_PGM_RSRC2:TGID_X_EN: 1
; COMPUTE_PGM_RSRC2:TGID_Y_EN: 0
; COMPUTE_PGM_RSRC2:TGID_Z_EN: 0
; COMPUTE_PGM_RSRC2:TIDIG_COMP_CNT: 0
	.section	.text._ZL22dequantize_block_iq1_sIfEvPKvPT_,"axG",@progbits,_ZL22dequantize_block_iq1_sIfEvPKvPT_,comdat
	.globl	_ZL22dequantize_block_iq1_sIfEvPKvPT_ ; -- Begin function _ZL22dequantize_block_iq1_sIfEvPKvPT_
	.p2align	8
	.type	_ZL22dequantize_block_iq1_sIfEvPKvPT_,@function
_ZL22dequantize_block_iq1_sIfEvPKvPT_:  ; @_ZL22dequantize_block_iq1_sIfEvPKvPT_
; %bb.0:
	s_load_b128 s[0:3], s[0:1], 0x0
	v_and_b32_e32 v3, 7, v0
	s_mov_b32 s4, ttmp9
	s_mov_b32 s5, 0
	v_lshrrev_b32_e32 v6, 3, v0
	s_mul_u64 s[6:7], s[4:5], 50
	v_lshlrev_b32_e32 v1, 1, v3
	v_and_b32_e32 v0, 0x3f8, v0
	s_delay_alu instid0(VALU_DEP_1) | instskip(SKIP_2) | instid1(SALU_CYCLE_1)
	v_lshlrev_b32_e32 v0, 2, v0
	s_wait_kmcnt 0x0
	s_add_nc_u64 s[0:1], s[0:1], s[6:7]
	v_add_co_u32 v2, s6, s0, v1
	s_delay_alu instid0(VALU_DEP_1) | instskip(SKIP_2) | instid1(VALU_DEP_1)
	v_add_co_ci_u32_e64 v4, null, s1, 0, s6
	global_load_u16 v5, v1, s[0:1] offset:34
	v_add_co_u32 v1, vcc_lo, v2, v1
	v_add_co_ci_u32_e64 v2, null, 0, v4, vcc_lo
	s_delay_alu instid0(VALU_DEP_2) | instskip(SKIP_1) | instid1(VALU_DEP_2)
	v_add_co_u32 v1, vcc_lo, v1, v6
	s_wait_alu 0xfffd
	v_add_co_ci_u32_e64 v2, null, 0, v2, vcc_lo
	global_load_u8 v1, v[1:2], off offset:2
	v_mul_u32_u24_e32 v2, 3, v6
	v_mov_b32_e32 v6, 0xbf600000
	s_wait_loadcnt 0x1
	v_and_b32_e32 v4, 0xffff, v5
	s_delay_alu instid0(VALU_DEP_1) | instskip(SKIP_1) | instid1(VALU_DEP_2)
	v_lshrrev_b32_e32 v2, v2, v4
	v_dual_mov_b32 v4, 0 :: v_dual_lshlrev_b32 v3, 7, v3
	v_lshlrev_b32_e32 v2, 8, v2
	s_wait_loadcnt 0x0
	s_delay_alu instid0(VALU_DEP_1)
	v_and_or_b32 v1, 0x700, v2, v1
	global_load_u16 v2, v4, s[0:1]
	s_getpc_b64 s[0:1]
	s_wait_alu 0xfffe
	s_sext_i32_i16 s1, s1
	s_add_co_u32 s0, s0, _ZL13iq1s_grid_gpu@rel32@lo+12
	s_wait_alu 0xfffe
	s_add_co_ci_u32 s1, s1, _ZL13iq1s_grid_gpu@rel32@hi+24
	v_lshrrev_b16 v4, 11, v5
	v_lshlrev_b32_e32 v1, 2, v1
	global_load_b32 v1, v1, s[0:1]
	s_lshl_b64 s[0:1], s[4:5], 10
	s_wait_alu 0xfffe
	s_add_nc_u64 s[0:1], s[2:3], s[0:1]
	s_wait_alu 0xfffe
	v_add_co_u32 v3, s0, s0, v3
	s_wait_alu 0xf1ff
	v_add_co_ci_u32_e64 v7, null, s1, 0, s0
	s_delay_alu instid0(VALU_DEP_2) | instskip(SKIP_1) | instid1(VALU_DEP_2)
	v_add_co_u32 v8, vcc_lo, v3, v0
	s_wait_alu 0xfffd
	v_add_co_ci_u32_e64 v9, null, 0, v7, vcc_lo
	v_cmp_lt_i16_e32 vcc_lo, -1, v5
	s_wait_alu 0xfffd
	v_cndmask_b32_e32 v0, 0xbf900000, v6, vcc_lo
	s_wait_loadcnt 0x1
	v_cvt_f32_f16_e32 v2, v2
	s_wait_loadcnt 0x0
	v_bfe_u32 v11, v1, 20, 4
	v_bfe_u32 v5, v1, 16, 4
	;; [unrolled: 1-line block ×4, first 2 shown]
	s_delay_alu instid0(VALU_DEP_4)
	v_cvt_f32_ubyte0_e32 v11, v11
	v_and_b32_e32 v4, 14, v4
	v_cvt_f32_ubyte0_e32 v5, v5
	v_cvt_f32_ubyte0_e32 v6, v6
	;; [unrolled: 1-line block ×3, first 2 shown]
	v_add_f32_e32 v11, v0, v11
	v_or_b32_e32 v4, 1, v4
	v_add_f32_e32 v5, v0, v5
	s_delay_alu instid0(VALU_DEP_2) | instskip(NEXT) | instid1(VALU_DEP_1)
	v_cvt_f32_ubyte0_e32 v4, v4
	v_dual_mul_f32 v7, v2, v4 :: v_dual_and_b32 v2, 0xf000000, v1
	v_bfe_u32 v4, v1, 8, 4
	s_delay_alu instid0(VALU_DEP_2) | instskip(SKIP_2) | instid1(VALU_DEP_4)
	v_cvt_f32_ubyte3_e32 v2, v2
	v_and_b32_e32 v3, 15, v1
	v_lshrrev_b32_e32 v1, 28, v1
	v_cvt_f32_ubyte0_e32 v4, v4
	s_delay_alu instid0(VALU_DEP_4) | instskip(NEXT) | instid1(VALU_DEP_4)
	v_add_f32_e32 v12, v0, v2
	v_cvt_f32_ubyte0_e32 v3, v3
	s_delay_alu instid0(VALU_DEP_4) | instskip(NEXT) | instid1(VALU_DEP_4)
	v_cvt_f32_ubyte0_e32 v1, v1
	v_add_f32_e32 v4, v0, v4
	v_add_f32_e32 v6, v0, v6
	;; [unrolled: 1-line block ×5, first 2 shown]
	v_mul_f32_e32 v1, v7, v4
	v_mul_f32_e32 v2, v7, v5
	;; [unrolled: 1-line block ×8, first 2 shown]
	s_clause 0x1
	global_store_b128 v[8:9], v[0:3], off
	global_store_b128 v[8:9], v[4:7], off offset:16
	s_endpgm
	.section	.rodata,"a",@progbits
	.p2align	6, 0x0
	.amdhsa_kernel _ZL22dequantize_block_iq1_sIfEvPKvPT_
		.amdhsa_group_segment_fixed_size 0
		.amdhsa_private_segment_fixed_size 0
		.amdhsa_kernarg_size 16
		.amdhsa_user_sgpr_count 2
		.amdhsa_user_sgpr_dispatch_ptr 0
		.amdhsa_user_sgpr_queue_ptr 0
		.amdhsa_user_sgpr_kernarg_segment_ptr 1
		.amdhsa_user_sgpr_dispatch_id 0
		.amdhsa_user_sgpr_private_segment_size 0
		.amdhsa_wavefront_size32 1
		.amdhsa_uses_dynamic_stack 0
		.amdhsa_enable_private_segment 0
		.amdhsa_system_sgpr_workgroup_id_x 1
		.amdhsa_system_sgpr_workgroup_id_y 0
		.amdhsa_system_sgpr_workgroup_id_z 0
		.amdhsa_system_sgpr_workgroup_info 0
		.amdhsa_system_vgpr_workitem_id 0
		.amdhsa_next_free_vgpr 14
		.amdhsa_next_free_sgpr 8
		.amdhsa_reserve_vcc 1
		.amdhsa_float_round_mode_32 0
		.amdhsa_float_round_mode_16_64 0
		.amdhsa_float_denorm_mode_32 3
		.amdhsa_float_denorm_mode_16_64 3
		.amdhsa_fp16_overflow 0
		.amdhsa_workgroup_processor_mode 1
		.amdhsa_memory_ordered 1
		.amdhsa_forward_progress 1
		.amdhsa_inst_pref_size 5
		.amdhsa_round_robin_scheduling 0
		.amdhsa_exception_fp_ieee_invalid_op 0
		.amdhsa_exception_fp_denorm_src 0
		.amdhsa_exception_fp_ieee_div_zero 0
		.amdhsa_exception_fp_ieee_overflow 0
		.amdhsa_exception_fp_ieee_underflow 0
		.amdhsa_exception_fp_ieee_inexact 0
		.amdhsa_exception_int_div_zero 0
	.end_amdhsa_kernel
	.section	.text._ZL22dequantize_block_iq1_sIfEvPKvPT_,"axG",@progbits,_ZL22dequantize_block_iq1_sIfEvPKvPT_,comdat
.Lfunc_end31:
	.size	_ZL22dequantize_block_iq1_sIfEvPKvPT_, .Lfunc_end31-_ZL22dequantize_block_iq1_sIfEvPKvPT_
                                        ; -- End function
	.set _ZL22dequantize_block_iq1_sIfEvPKvPT_.num_vgpr, 14
	.set _ZL22dequantize_block_iq1_sIfEvPKvPT_.num_agpr, 0
	.set _ZL22dequantize_block_iq1_sIfEvPKvPT_.numbered_sgpr, 8
	.set _ZL22dequantize_block_iq1_sIfEvPKvPT_.num_named_barrier, 0
	.set _ZL22dequantize_block_iq1_sIfEvPKvPT_.private_seg_size, 0
	.set _ZL22dequantize_block_iq1_sIfEvPKvPT_.uses_vcc, 1
	.set _ZL22dequantize_block_iq1_sIfEvPKvPT_.uses_flat_scratch, 0
	.set _ZL22dequantize_block_iq1_sIfEvPKvPT_.has_dyn_sized_stack, 0
	.set _ZL22dequantize_block_iq1_sIfEvPKvPT_.has_recursion, 0
	.set _ZL22dequantize_block_iq1_sIfEvPKvPT_.has_indirect_call, 0
	.section	.AMDGPU.csdata,"",@progbits
; Kernel info:
; codeLenInByte = 580
; TotalNumSgprs: 10
; NumVgprs: 14
; ScratchSize: 0
; MemoryBound: 0
; FloatMode: 240
; IeeeMode: 1
; LDSByteSize: 0 bytes/workgroup (compile time only)
; SGPRBlocks: 0
; VGPRBlocks: 1
; NumSGPRsForWavesPerEU: 10
; NumVGPRsForWavesPerEU: 14
; Occupancy: 16
; WaveLimiterHint : 0
; COMPUTE_PGM_RSRC2:SCRATCH_EN: 0
; COMPUTE_PGM_RSRC2:USER_SGPR: 2
; COMPUTE_PGM_RSRC2:TRAP_HANDLER: 0
; COMPUTE_PGM_RSRC2:TGID_X_EN: 1
; COMPUTE_PGM_RSRC2:TGID_Y_EN: 0
; COMPUTE_PGM_RSRC2:TGID_Z_EN: 0
; COMPUTE_PGM_RSRC2:TIDIG_COMP_CNT: 0
	.section	.text._ZL22dequantize_block_iq1_mIfEvPKvPT_,"axG",@progbits,_ZL22dequantize_block_iq1_mIfEvPKvPT_,comdat
	.globl	_ZL22dequantize_block_iq1_mIfEvPKvPT_ ; -- Begin function _ZL22dequantize_block_iq1_mIfEvPKvPT_
	.p2align	8
	.type	_ZL22dequantize_block_iq1_mIfEvPKvPT_,@function
_ZL22dequantize_block_iq1_mIfEvPKvPT_:  ; @_ZL22dequantize_block_iq1_mIfEvPKvPT_
; %bb.0:
	s_load_b128 s[0:3], s[0:1], 0x0
	v_and_b32_e32 v5, 7, v0
	s_mov_b32 s4, ttmp9
	s_mov_b32 s5, 0
	v_lshrrev_b32_e32 v2, 3, v0
	s_mul_u64 s[6:7], s[4:5], 56
	v_dual_mov_b32 v10, 0xbf600000 :: v_dual_lshlrev_b32 v1, 2, v5
	v_lshrrev_b32_e32 v3, 4, v0
	v_lshlrev_b32_e32 v6, 1, v5
	s_delay_alu instid0(VALU_DEP_1) | instskip(SKIP_2) | instid1(SALU_CYCLE_1)
	v_add_nc_u32_e32 v7, v6, v3
	s_wait_kmcnt 0x0
	s_add_nc_u64 s[0:1], s[0:1], s[6:7]
	v_add_co_u32 v1, s6, s0, v1
	s_delay_alu instid0(VALU_DEP_1) | instskip(NEXT) | instid1(VALU_DEP_2)
	v_add_co_ci_u32_e64 v4, null, s1, 0, s6
	v_add_co_u32 v1, vcc_lo, v1, v2
	s_delay_alu instid0(VALU_DEP_1)
	v_add_co_ci_u32_e64 v2, null, 0, v4, vcc_lo
	s_clause 0x1
	global_load_u8 v8, v[1:2], off
	global_load_u8 v9, v7, s[0:1] offset:32
	v_add_nc_u16 v1, v6, v3
	v_mov_b32_e32 v2, 0
	v_lshrrev_b32_e32 v6, 1, v0
	v_and_b32_e32 v7, 3, v7
	s_delay_alu instid0(VALU_DEP_4) | instskip(NEXT) | instid1(VALU_DEP_1)
	v_lshrrev_b16 v1, 1, v1
	v_and_b32_e32 v3, 62, v1
	global_load_b64 v[1:2], v2, s[0:1] offset:48
	v_add_co_u32 v3, s0, s0, v3
	s_wait_alu 0xf1ff
	v_add_co_ci_u32_e64 v4, null, s1, 0, s0
	s_getpc_b64 s[0:1]
	s_wait_alu 0xfffe
	s_sext_i32_i16 s1, s1
	s_add_co_u32 s0, s0, _ZL13iq1s_grid_gpu@rel32@lo+12
	s_wait_alu 0xfffe
	s_add_co_ci_u32 s1, s1, _ZL13iq1s_grid_gpu@rel32@hi+24
	global_load_u16 v3, v[3:4], off offset:48
	v_and_b32_e32 v4, 4, v6
	s_wait_loadcnt 0x2
	s_delay_alu instid0(VALU_DEP_1) | instskip(NEXT) | instid1(VALU_DEP_1)
	v_lshrrev_b32_e32 v4, v4, v9
	v_lshlrev_b32_e32 v6, 8, v4
	v_and_b32_e32 v4, 8, v4
	s_delay_alu instid0(VALU_DEP_2) | instskip(NEXT) | instid1(VALU_DEP_1)
	v_and_or_b32 v6, 0x700, v6, v8
	v_lshlrev_b32_e32 v6, 2, v6
	global_load_b32 v6, v6, s[0:1]
	s_lshl_b64 s[0:1], s[4:5], 10
	s_wait_loadcnt 0x2
	v_readfirstlane_b32 s4, v2
	v_mul_u32_u24_e32 v2, 3, v7
	v_readfirstlane_b32 s5, v1
	v_lshlrev_b32_e32 v1, 7, v5
	s_wait_alu 0xfffe
	s_add_nc_u64 s[0:1], s[2:3], s[0:1]
	s_lshr_b32 s6, s4, 16
	s_wait_loadcnt 0x1
	v_lshrrev_b32_e32 v2, v2, v3
	s_bfe_u32 s7, s5, 0x4000c
	s_lshr_b32 s5, s5, 24
	s_lshr_b32 s4, s4, 4
	s_and_b32 s5, s5, 0xf0
	v_lshlrev_b32_e32 v2, 1, v2
	s_and_b32 s4, s4, 0xf00
	s_wait_alu 0xfffe
	s_or_b32 s5, s5, s7
	s_and_b32 s6, s6, 0xf000
	s_or_b32 s4, s5, s4
	v_and_or_b32 v2, v2, 14, 1
	s_wait_alu 0xfffe
	s_or_b32 s2, s4, s6
	v_add_co_u32 v1, s0, s0, v1
	s_wait_alu 0xf1ff
	v_add_co_ci_u32_e64 v3, null, s1, 0, s0
	v_cvt_f32_ubyte0_e32 v2, v2
	s_cvt_f32_f16 s0, s2
	s_wait_alu 0xfffe
	s_delay_alu instid0(VALU_DEP_1) | instid1(SALU_CYCLE_2)
	v_dual_mul_f32 v7, s0, v2 :: v_dual_and_b32 v0, 0x3f8, v0
	s_delay_alu instid0(VALU_DEP_1) | instskip(NEXT) | instid1(VALU_DEP_1)
	v_lshlrev_b32_e32 v0, 2, v0
	v_add_co_u32 v8, vcc_lo, v1, v0
	s_wait_alu 0xfffd
	v_add_co_ci_u32_e64 v9, null, 0, v3, vcc_lo
	v_cmp_eq_u32_e32 vcc_lo, 0, v4
	s_wait_alu 0xfffd
	v_cndmask_b32_e32 v0, 0xbf900000, v10, vcc_lo
	s_wait_loadcnt 0x0
	v_bfe_u32 v4, v6, 16, 4
	v_and_b32_e32 v2, 15, v6
	v_bfe_u32 v3, v6, 8, 4
	v_bfe_u32 v5, v6, 4, 4
	;; [unrolled: 1-line block ×3, first 2 shown]
	v_cvt_f32_ubyte0_e32 v4, v4
	v_bfe_u32 v11, v6, 20, 4
	v_cvt_f32_ubyte0_e32 v2, v2
	v_cvt_f32_ubyte0_e32 v3, v3
	;; [unrolled: 1-line block ×3, first 2 shown]
	v_dual_add_f32 v4, v0, v4 :: v_dual_and_b32 v1, 0xf000000, v6
	v_lshrrev_b32_e32 v6, 28, v6
	v_cvt_f32_ubyte0_e32 v10, v10
	v_cvt_f32_ubyte0_e32 v11, v11
	v_add_f32_e32 v2, v0, v2
	v_cvt_f32_ubyte3_e32 v1, v1
	v_cvt_f32_ubyte0_e32 v6, v6
	v_add_f32_e32 v3, v0, v3
	v_add_f32_e32 v5, v0, v5
	;; [unrolled: 1-line block ×6, first 2 shown]
	v_mul_f32_e32 v0, v7, v2
	v_mul_f32_e32 v1, v7, v3
	;; [unrolled: 1-line block ×8, first 2 shown]
	s_clause 0x1
	global_store_b128 v[8:9], v[0:3], off
	global_store_b128 v[8:9], v[4:7], off offset:16
	s_endpgm
	.section	.rodata,"a",@progbits
	.p2align	6, 0x0
	.amdhsa_kernel _ZL22dequantize_block_iq1_mIfEvPKvPT_
		.amdhsa_group_segment_fixed_size 0
		.amdhsa_private_segment_fixed_size 0
		.amdhsa_kernarg_size 16
		.amdhsa_user_sgpr_count 2
		.amdhsa_user_sgpr_dispatch_ptr 0
		.amdhsa_user_sgpr_queue_ptr 0
		.amdhsa_user_sgpr_kernarg_segment_ptr 1
		.amdhsa_user_sgpr_dispatch_id 0
		.amdhsa_user_sgpr_private_segment_size 0
		.amdhsa_wavefront_size32 1
		.amdhsa_uses_dynamic_stack 0
		.amdhsa_enable_private_segment 0
		.amdhsa_system_sgpr_workgroup_id_x 1
		.amdhsa_system_sgpr_workgroup_id_y 0
		.amdhsa_system_sgpr_workgroup_id_z 0
		.amdhsa_system_sgpr_workgroup_info 0
		.amdhsa_system_vgpr_workitem_id 0
		.amdhsa_next_free_vgpr 14
		.amdhsa_next_free_sgpr 8
		.amdhsa_reserve_vcc 1
		.amdhsa_float_round_mode_32 0
		.amdhsa_float_round_mode_16_64 0
		.amdhsa_float_denorm_mode_32 3
		.amdhsa_float_denorm_mode_16_64 3
		.amdhsa_fp16_overflow 0
		.amdhsa_workgroup_processor_mode 1
		.amdhsa_memory_ordered 1
		.amdhsa_forward_progress 1
		.amdhsa_inst_pref_size 6
		.amdhsa_round_robin_scheduling 0
		.amdhsa_exception_fp_ieee_invalid_op 0
		.amdhsa_exception_fp_denorm_src 0
		.amdhsa_exception_fp_ieee_div_zero 0
		.amdhsa_exception_fp_ieee_overflow 0
		.amdhsa_exception_fp_ieee_underflow 0
		.amdhsa_exception_fp_ieee_inexact 0
		.amdhsa_exception_int_div_zero 0
	.end_amdhsa_kernel
	.section	.text._ZL22dequantize_block_iq1_mIfEvPKvPT_,"axG",@progbits,_ZL22dequantize_block_iq1_mIfEvPKvPT_,comdat
.Lfunc_end32:
	.size	_ZL22dequantize_block_iq1_mIfEvPKvPT_, .Lfunc_end32-_ZL22dequantize_block_iq1_mIfEvPKvPT_
                                        ; -- End function
	.set _ZL22dequantize_block_iq1_mIfEvPKvPT_.num_vgpr, 14
	.set _ZL22dequantize_block_iq1_mIfEvPKvPT_.num_agpr, 0
	.set _ZL22dequantize_block_iq1_mIfEvPKvPT_.numbered_sgpr, 8
	.set _ZL22dequantize_block_iq1_mIfEvPKvPT_.num_named_barrier, 0
	.set _ZL22dequantize_block_iq1_mIfEvPKvPT_.private_seg_size, 0
	.set _ZL22dequantize_block_iq1_mIfEvPKvPT_.uses_vcc, 1
	.set _ZL22dequantize_block_iq1_mIfEvPKvPT_.uses_flat_scratch, 0
	.set _ZL22dequantize_block_iq1_mIfEvPKvPT_.has_dyn_sized_stack, 0
	.set _ZL22dequantize_block_iq1_mIfEvPKvPT_.has_recursion, 0
	.set _ZL22dequantize_block_iq1_mIfEvPKvPT_.has_indirect_call, 0
	.section	.AMDGPU.csdata,"",@progbits
; Kernel info:
; codeLenInByte = 696
; TotalNumSgprs: 10
; NumVgprs: 14
; ScratchSize: 0
; MemoryBound: 0
; FloatMode: 240
; IeeeMode: 1
; LDSByteSize: 0 bytes/workgroup (compile time only)
; SGPRBlocks: 0
; VGPRBlocks: 1
; NumSGPRsForWavesPerEU: 10
; NumVGPRsForWavesPerEU: 14
; Occupancy: 16
; WaveLimiterHint : 0
; COMPUTE_PGM_RSRC2:SCRATCH_EN: 0
; COMPUTE_PGM_RSRC2:USER_SGPR: 2
; COMPUTE_PGM_RSRC2:TRAP_HANDLER: 0
; COMPUTE_PGM_RSRC2:TGID_X_EN: 1
; COMPUTE_PGM_RSRC2:TGID_Y_EN: 0
; COMPUTE_PGM_RSRC2:TGID_Z_EN: 0
; COMPUTE_PGM_RSRC2:TIDIG_COMP_CNT: 0
	.section	.text._ZL23dequantize_block_iq4_nlIfEvPKvPT_,"axG",@progbits,_ZL23dequantize_block_iq4_nlIfEvPKvPT_,comdat
	.globl	_ZL23dequantize_block_iq4_nlIfEvPKvPT_ ; -- Begin function _ZL23dequantize_block_iq4_nlIfEvPKvPT_
	.p2align	8
	.type	_ZL23dequantize_block_iq4_nlIfEvPKvPT_,@function
_ZL23dequantize_block_iq4_nlIfEvPKvPT_: ; @_ZL23dequantize_block_iq4_nlIfEvPKvPT_
; %bb.0:
	s_load_b128 s[0:3], s[0:1], 0x0
	s_mov_b32 s4, ttmp9
	s_mov_b32 s5, 0
	v_and_b32_e32 v4, 7, v0
	s_mul_u64 s[6:7], s[4:5], 0x90
	v_lshrrev_b32_e32 v2, 1, v0
	s_delay_alu instid0(VALU_DEP_1) | instskip(SKIP_2) | instid1(SALU_CYCLE_1)
	v_and_b32_e32 v5, 0x1fc, v2
	s_wait_kmcnt 0x0
	s_add_nc_u64 s[0:1], s[0:1], s[6:7]
	v_mad_co_u64_u32 v[0:1], null, v4, 18, s[0:1]
	s_getpc_b64 s[0:1]
	s_wait_alu 0xfffe
	s_sext_i32_i16 s1, s1
	s_add_co_u32 s0, s0, _ZL13kvalues_iq4nl@rel32@lo+12
	s_wait_alu 0xfffe
	s_add_co_ci_u32 s1, s1, _ZL13kvalues_iq4nl@rel32@hi+24
	v_add_co_u32 v2, vcc_lo, v0, v5
	s_delay_alu instid0(VALU_DEP_1)
	v_add_co_ci_u32_e64 v3, null, 0, v1, vcc_lo
	s_clause 0x1
	global_load_b32 v2, v[2:3], off offset:2
	global_load_u16 v0, v[0:1], off
	s_wait_loadcnt 0x1
	v_bfe_u32 v3, v2, 4, 4
	s_wait_loadcnt 0x0
	v_cvt_f32_f16_e32 v13, v0
	v_and_b32_e32 v1, 15, v2
	v_bfe_u32 v6, v2, 8, 4
	v_bfe_u32 v7, v2, 12, 4
	;; [unrolled: 1-line block ×5, first 2 shown]
	v_lshrrev_b32_e32 v2, 28, v2
	s_clause 0x7
	global_load_i8 v1, v1, s[0:1]
	global_load_i8 v3, v3, s[0:1]
	;; [unrolled: 1-line block ×8, first 2 shown]
	v_lshlrev_b32_e32 v4, 7, v4
	s_lshl_b64 s[0:1], s[4:5], 10
	s_wait_alu 0xfffe
	s_add_nc_u64 s[0:1], s[2:3], s[0:1]
	s_wait_alu 0xfffe
	v_add_co_u32 v4, s0, s0, v4
	s_wait_alu 0xf1ff
	v_add_co_ci_u32_e64 v9, null, s1, 0, s0
	s_wait_loadcnt 0x7
	v_cvt_f32_i32_e32 v0, v1
	s_wait_loadcnt 0x6
	v_cvt_f32_i32_e32 v1, v3
	;; [unrolled: 2-line block ×4, first 2 shown]
	v_dual_mul_f32 v0, v13, v0 :: v_dual_lshlrev_b32 v5, 2, v5
	s_wait_loadcnt 0x1
	v_cvt_f32_i32_e32 v10, v10
	s_wait_loadcnt 0x0
	v_cvt_f32_i32_e32 v11, v2
	v_mul_f32_e32 v2, v13, v6
	v_add_co_u32 v8, vcc_lo, v4, v5
	v_cvt_f32_i32_e32 v5, v7
	v_cvt_f32_i32_e32 v7, v12
	s_wait_alu 0xfffd
	v_add_co_ci_u32_e64 v9, null, 0, v9, vcc_lo
	v_mul_f32_e32 v4, v13, v1
	v_mul_f32_e32 v1, v13, v3
	;; [unrolled: 1-line block ×6, first 2 shown]
	s_clause 0x1
	global_store_b128 v[8:9], v[0:3], off
	global_store_b128 v[8:9], v[4:7], off offset:64
	s_endpgm
	.section	.rodata,"a",@progbits
	.p2align	6, 0x0
	.amdhsa_kernel _ZL23dequantize_block_iq4_nlIfEvPKvPT_
		.amdhsa_group_segment_fixed_size 0
		.amdhsa_private_segment_fixed_size 0
		.amdhsa_kernarg_size 16
		.amdhsa_user_sgpr_count 2
		.amdhsa_user_sgpr_dispatch_ptr 0
		.amdhsa_user_sgpr_queue_ptr 0
		.amdhsa_user_sgpr_kernarg_segment_ptr 1
		.amdhsa_user_sgpr_dispatch_id 0
		.amdhsa_user_sgpr_private_segment_size 0
		.amdhsa_wavefront_size32 1
		.amdhsa_uses_dynamic_stack 0
		.amdhsa_enable_private_segment 0
		.amdhsa_system_sgpr_workgroup_id_x 1
		.amdhsa_system_sgpr_workgroup_id_y 0
		.amdhsa_system_sgpr_workgroup_id_z 0
		.amdhsa_system_sgpr_workgroup_info 0
		.amdhsa_system_vgpr_workitem_id 0
		.amdhsa_next_free_vgpr 14
		.amdhsa_next_free_sgpr 8
		.amdhsa_reserve_vcc 1
		.amdhsa_float_round_mode_32 0
		.amdhsa_float_round_mode_16_64 0
		.amdhsa_float_denorm_mode_32 3
		.amdhsa_float_denorm_mode_16_64 3
		.amdhsa_fp16_overflow 0
		.amdhsa_workgroup_processor_mode 1
		.amdhsa_memory_ordered 1
		.amdhsa_forward_progress 1
		.amdhsa_inst_pref_size 4
		.amdhsa_round_robin_scheduling 0
		.amdhsa_exception_fp_ieee_invalid_op 0
		.amdhsa_exception_fp_denorm_src 0
		.amdhsa_exception_fp_ieee_div_zero 0
		.amdhsa_exception_fp_ieee_overflow 0
		.amdhsa_exception_fp_ieee_underflow 0
		.amdhsa_exception_fp_ieee_inexact 0
		.amdhsa_exception_int_div_zero 0
	.end_amdhsa_kernel
	.section	.text._ZL23dequantize_block_iq4_nlIfEvPKvPT_,"axG",@progbits,_ZL23dequantize_block_iq4_nlIfEvPKvPT_,comdat
.Lfunc_end33:
	.size	_ZL23dequantize_block_iq4_nlIfEvPKvPT_, .Lfunc_end33-_ZL23dequantize_block_iq4_nlIfEvPKvPT_
                                        ; -- End function
	.set _ZL23dequantize_block_iq4_nlIfEvPKvPT_.num_vgpr, 14
	.set _ZL23dequantize_block_iq4_nlIfEvPKvPT_.num_agpr, 0
	.set _ZL23dequantize_block_iq4_nlIfEvPKvPT_.numbered_sgpr, 8
	.set _ZL23dequantize_block_iq4_nlIfEvPKvPT_.num_named_barrier, 0
	.set _ZL23dequantize_block_iq4_nlIfEvPKvPT_.private_seg_size, 0
	.set _ZL23dequantize_block_iq4_nlIfEvPKvPT_.uses_vcc, 1
	.set _ZL23dequantize_block_iq4_nlIfEvPKvPT_.uses_flat_scratch, 0
	.set _ZL23dequantize_block_iq4_nlIfEvPKvPT_.has_dyn_sized_stack, 0
	.set _ZL23dequantize_block_iq4_nlIfEvPKvPT_.has_recursion, 0
	.set _ZL23dequantize_block_iq4_nlIfEvPKvPT_.has_indirect_call, 0
	.section	.AMDGPU.csdata,"",@progbits
; Kernel info:
; codeLenInByte = 492
; TotalNumSgprs: 10
; NumVgprs: 14
; ScratchSize: 0
; MemoryBound: 0
; FloatMode: 240
; IeeeMode: 1
; LDSByteSize: 0 bytes/workgroup (compile time only)
; SGPRBlocks: 0
; VGPRBlocks: 1
; NumSGPRsForWavesPerEU: 10
; NumVGPRsForWavesPerEU: 14
; Occupancy: 16
; WaveLimiterHint : 0
; COMPUTE_PGM_RSRC2:SCRATCH_EN: 0
; COMPUTE_PGM_RSRC2:USER_SGPR: 2
; COMPUTE_PGM_RSRC2:TRAP_HANDLER: 0
; COMPUTE_PGM_RSRC2:TGID_X_EN: 1
; COMPUTE_PGM_RSRC2:TGID_Y_EN: 0
; COMPUTE_PGM_RSRC2:TGID_Z_EN: 0
; COMPUTE_PGM_RSRC2:TIDIG_COMP_CNT: 0
	.section	.text._ZL23dequantize_block_iq4_xsIfEvPKvPT_,"axG",@progbits,_ZL23dequantize_block_iq4_xsIfEvPKvPT_,comdat
	.globl	_ZL23dequantize_block_iq4_xsIfEvPKvPT_ ; -- Begin function _ZL23dequantize_block_iq4_xsIfEvPKvPT_
	.p2align	8
	.type	_ZL23dequantize_block_iq4_xsIfEvPKvPT_,@function
_ZL23dequantize_block_iq4_xsIfEvPKvPT_: ; @_ZL23dequantize_block_iq4_xsIfEvPKvPT_
; %bb.0:
	s_load_b128 s[0:3], s[0:1], 0x0
	v_and_b32_e32 v3, 7, v0
	s_mov_b32 s4, ttmp9
	s_mov_b32 s5, 0
	v_lshrrev_b32_e32 v1, 1, v0
	s_mul_u64 s[6:7], s[4:5], 0x88
	v_lshlrev_b32_e32 v2, 4, v3
	v_bfe_u32 v5, v0, 1, 2
	v_lshlrev_b32_e32 v0, 2, v0
	v_and_b32_e32 v4, 0x1fc, v1
	s_delay_alu instid0(VALU_DEP_2) | instskip(SKIP_2) | instid1(SALU_CYCLE_1)
	v_and_b32_e32 v0, 4, v0
	s_wait_kmcnt 0x0
	s_add_nc_u64 s[0:1], s[0:1], s[6:7]
	v_add_co_u32 v1, s6, s0, v2
	s_delay_alu instid0(VALU_DEP_1) | instskip(SKIP_2) | instid1(VALU_DEP_1)
	v_add_co_ci_u32_e64 v2, null, s1, 0, s6
	global_load_u8 v5, v5, s[0:1] offset:4
	v_add_co_u32 v1, vcc_lo, v1, v4
	v_add_co_ci_u32_e64 v2, null, 0, v2, vcc_lo
	global_load_b32 v1, v[1:2], off offset:8
	v_mov_b32_e32 v2, 0
	global_load_b32 v2, v2, s[0:1]
	s_getpc_b64 s[0:1]
	s_wait_alu 0xfffe
	s_sext_i32_i16 s1, s1
	s_add_co_u32 s0, s0, _ZL13kvalues_iq4nl@rel32@lo+12
	s_wait_alu 0xfffe
	s_add_co_ci_u32 s1, s1, _ZL13kvalues_iq4nl@rel32@hi+24
	s_wait_loadcnt 0x2
	v_bfe_u32 v0, v5, v0, 4
	s_wait_loadcnt 0x1
	v_and_b32_e32 v6, 15, v1
	v_bfe_u32 v7, v1, 4, 4
	v_bfe_u32 v8, v1, 8, 4
	;; [unrolled: 1-line block ×6, first 2 shown]
	v_lshrrev_b32_e32 v1, 28, v1
	s_clause 0x7
	global_load_i8 v6, v6, s[0:1]
	global_load_i8 v7, v7, s[0:1]
	;; [unrolled: 1-line block ×8, first 2 shown]
	v_lshlrev_b32_e32 v8, 1, v3
	s_wait_loadcnt 0x8
	v_lshrrev_b32_e32 v9, 16, v2
	v_cvt_f32_f16_e32 v2, v2
	s_lshl_b64 s[0:1], s[4:5], 10
	s_wait_alu 0xfffe
	s_add_nc_u64 s[0:1], s[2:3], s[0:1]
	v_lshrrev_b32_e32 v8, v8, v9
	s_delay_alu instid0(VALU_DEP_1) | instskip(NEXT) | instid1(VALU_DEP_1)
	v_lshlrev_b32_e32 v5, 4, v8
	v_and_or_b32 v0, v5, 48, v0
	s_delay_alu instid0(VALU_DEP_1) | instskip(NEXT) | instid1(VALU_DEP_1)
	v_subrev_nc_u32_e32 v0, 32, v0
	v_cvt_f32_i32_e32 v0, v0
	s_delay_alu instid0(VALU_DEP_1)
	v_mul_f32_e32 v15, v2, v0
	v_lshlrev_b32_e32 v4, 2, v4
	s_wait_loadcnt 0x7
	v_cvt_f32_i32_e32 v0, v6
	v_lshlrev_b32_e32 v3, 7, v3
	s_wait_loadcnt 0x6
	v_cvt_f32_i32_e32 v2, v7
	s_wait_loadcnt 0x3
	v_cvt_f32_i32_e32 v6, v10
	v_mul_f32_e32 v0, v15, v0
	s_wait_alu 0xfffe
	v_add_co_u32 v3, s0, s0, v3
	s_wait_alu 0xf1ff
	v_add_co_ci_u32_e64 v5, null, s1, 0, s0
	s_wait_loadcnt 0x1
	v_cvt_f32_i32_e32 v10, v12
	v_add_co_u32 v8, vcc_lo, v3, v4
	v_cvt_f32_i32_e32 v3, v13
	s_wait_alu 0xfffd
	v_add_co_ci_u32_e64 v9, null, 0, v5, vcc_lo
	v_cvt_f32_i32_e32 v5, v14
	v_cvt_f32_i32_e32 v7, v11
	s_wait_loadcnt 0x0
	v_cvt_f32_i32_e32 v11, v1
	v_mul_f32_e32 v4, v15, v2
	v_mul_f32_e32 v1, v15, v3
	;; [unrolled: 1-line block ×7, first 2 shown]
	s_clause 0x1
	global_store_b128 v[8:9], v[0:3], off
	global_store_b128 v[8:9], v[4:7], off offset:64
	s_endpgm
	.section	.rodata,"a",@progbits
	.p2align	6, 0x0
	.amdhsa_kernel _ZL23dequantize_block_iq4_xsIfEvPKvPT_
		.amdhsa_group_segment_fixed_size 0
		.amdhsa_private_segment_fixed_size 0
		.amdhsa_kernarg_size 16
		.amdhsa_user_sgpr_count 2
		.amdhsa_user_sgpr_dispatch_ptr 0
		.amdhsa_user_sgpr_queue_ptr 0
		.amdhsa_user_sgpr_kernarg_segment_ptr 1
		.amdhsa_user_sgpr_dispatch_id 0
		.amdhsa_user_sgpr_private_segment_size 0
		.amdhsa_wavefront_size32 1
		.amdhsa_uses_dynamic_stack 0
		.amdhsa_enable_private_segment 0
		.amdhsa_system_sgpr_workgroup_id_x 1
		.amdhsa_system_sgpr_workgroup_id_y 0
		.amdhsa_system_sgpr_workgroup_id_z 0
		.amdhsa_system_sgpr_workgroup_info 0
		.amdhsa_system_vgpr_workitem_id 0
		.amdhsa_next_free_vgpr 16
		.amdhsa_next_free_sgpr 8
		.amdhsa_reserve_vcc 1
		.amdhsa_float_round_mode_32 0
		.amdhsa_float_round_mode_16_64 0
		.amdhsa_float_denorm_mode_32 3
		.amdhsa_float_denorm_mode_16_64 3
		.amdhsa_fp16_overflow 0
		.amdhsa_workgroup_processor_mode 1
		.amdhsa_memory_ordered 1
		.amdhsa_forward_progress 1
		.amdhsa_inst_pref_size 5
		.amdhsa_round_robin_scheduling 0
		.amdhsa_exception_fp_ieee_invalid_op 0
		.amdhsa_exception_fp_denorm_src 0
		.amdhsa_exception_fp_ieee_div_zero 0
		.amdhsa_exception_fp_ieee_overflow 0
		.amdhsa_exception_fp_ieee_underflow 0
		.amdhsa_exception_fp_ieee_inexact 0
		.amdhsa_exception_int_div_zero 0
	.end_amdhsa_kernel
	.section	.text._ZL23dequantize_block_iq4_xsIfEvPKvPT_,"axG",@progbits,_ZL23dequantize_block_iq4_xsIfEvPKvPT_,comdat
.Lfunc_end34:
	.size	_ZL23dequantize_block_iq4_xsIfEvPKvPT_, .Lfunc_end34-_ZL23dequantize_block_iq4_xsIfEvPKvPT_
                                        ; -- End function
	.set _ZL23dequantize_block_iq4_xsIfEvPKvPT_.num_vgpr, 16
	.set _ZL23dequantize_block_iq4_xsIfEvPKvPT_.num_agpr, 0
	.set _ZL23dequantize_block_iq4_xsIfEvPKvPT_.numbered_sgpr, 8
	.set _ZL23dequantize_block_iq4_xsIfEvPKvPT_.num_named_barrier, 0
	.set _ZL23dequantize_block_iq4_xsIfEvPKvPT_.private_seg_size, 0
	.set _ZL23dequantize_block_iq4_xsIfEvPKvPT_.uses_vcc, 1
	.set _ZL23dequantize_block_iq4_xsIfEvPKvPT_.uses_flat_scratch, 0
	.set _ZL23dequantize_block_iq4_xsIfEvPKvPT_.has_dyn_sized_stack, 0
	.set _ZL23dequantize_block_iq4_xsIfEvPKvPT_.has_recursion, 0
	.set _ZL23dequantize_block_iq4_xsIfEvPKvPT_.has_indirect_call, 0
	.section	.AMDGPU.csdata,"",@progbits
; Kernel info:
; codeLenInByte = 588
; TotalNumSgprs: 10
; NumVgprs: 16
; ScratchSize: 0
; MemoryBound: 0
; FloatMode: 240
; IeeeMode: 1
; LDSByteSize: 0 bytes/workgroup (compile time only)
; SGPRBlocks: 0
; VGPRBlocks: 1
; NumSGPRsForWavesPerEU: 10
; NumVGPRsForWavesPerEU: 16
; Occupancy: 16
; WaveLimiterHint : 0
; COMPUTE_PGM_RSRC2:SCRATCH_EN: 0
; COMPUTE_PGM_RSRC2:USER_SGPR: 2
; COMPUTE_PGM_RSRC2:TRAP_HANDLER: 0
; COMPUTE_PGM_RSRC2:TGID_X_EN: 1
; COMPUTE_PGM_RSRC2:TGID_Y_EN: 0
; COMPUTE_PGM_RSRC2:TGID_Z_EN: 0
; COMPUTE_PGM_RSRC2:TIDIG_COMP_CNT: 0
	.section	.text._ZL22dequantize_block_iq3_sIfEvPKvPT_,"axG",@progbits,_ZL22dequantize_block_iq3_sIfEvPKvPT_,comdat
	.globl	_ZL22dequantize_block_iq3_sIfEvPKvPT_ ; -- Begin function _ZL22dequantize_block_iq3_sIfEvPKvPT_
	.p2align	8
	.type	_ZL22dequantize_block_iq3_sIfEvPKvPT_,@function
_ZL22dequantize_block_iq3_sIfEvPKvPT_:  ; @_ZL22dequantize_block_iq3_sIfEvPKvPT_
; %bb.0:
	s_load_b128 s[0:3], s[0:1], 0x0
	s_mov_b32 s4, ttmp9
	s_mov_b32 s5, 0
	v_and_b32_e32 v5, 7, v0
	s_mul_u64 s[6:7], s[4:5], 0x6e
	v_lshrrev_b32_e32 v6, 3, v0
	v_bfe_u32 v8, v0, 1, 2
	s_delay_alu instid0(VALU_DEP_3) | instskip(NEXT) | instid1(VALU_DEP_3)
	v_lshlrev_b32_e32 v3, 3, v5
	v_lshlrev_b32_e32 v7, 1, v6
	s_wait_kmcnt 0x0
	s_add_nc_u64 s[0:1], s[0:1], s[6:7]
	s_delay_alu instid0(SALU_CYCLE_1) | instskip(NEXT) | instid1(VALU_DEP_1)
	v_add_co_u32 v1, s6, s0, v5
	v_add_co_ci_u32_e64 v2, null, s1, 0, s6
	v_add_co_u32 v3, s6, s0, v3
	s_wait_alu 0xf1ff
	v_add_co_ci_u32_e64 v4, null, s1, 0, s6
	s_delay_alu instid0(VALU_DEP_3) | instskip(NEXT) | instid1(VALU_DEP_3)
	v_mad_co_u64_u32 v[1:2], null, v5, 3, v[1:2]
	v_add_co_u32 v3, vcc_lo, v3, v7
	s_delay_alu instid0(VALU_DEP_1) | instskip(NEXT) | instid1(VALU_DEP_3)
	v_add_co_ci_u32_e64 v4, null, 0, v4, vcc_lo
	v_add_co_u32 v1, vcc_lo, v1, v6
	s_wait_alu 0xfffd
	s_delay_alu instid0(VALU_DEP_4)
	v_add_co_ci_u32_e64 v2, null, 0, v2, vcc_lo
	s_clause 0x3
	global_load_u16 v3, v[3:4], off offset:2
	global_load_u8 v4, v8, s[0:1] offset:106
	global_load_i8 v10, v[1:2], off offset:74
	global_load_u8 v1, v5, s[0:1] offset:66
	v_sub_nc_u32_e32 v6, 8, v7
	v_sub_nc_u32_e32 v7, 7, v7
	v_dual_mov_b32 v8, 0 :: v_dual_lshlrev_b32 v5, 7, v5
	s_wait_loadcnt 0x3
	v_lshrrev_b16 v2, 8, v3
	v_and_b32_e32 v3, 0xff, v3
	s_wait_loadcnt 0x1
	v_and_b32_e32 v11, 4, v10
	s_wait_loadcnt 0x0
	v_lshlrev_b32_e32 v6, v6, v1
	v_lshlrev_b32_e32 v1, v7, v1
	v_and_b32_e32 v2, 0xffff, v2
	global_load_u16 v7, v8, s[0:1]
	s_getpc_b64 s[0:1]
	s_wait_alu 0xfffe
	s_sext_i32_i16 s1, s1
	s_add_co_u32 s0, s0, _ZL9iq3s_grid@rel32@lo+12
	s_wait_alu 0xfffe
	s_add_co_ci_u32 s1, s1, _ZL9iq3s_grid@rel32@hi+24
	v_and_or_b32 v3, 0x100, v6, v3
	v_and_b32_e32 v6, 2, v10
	v_and_or_b32 v1, 0x100, v1, v2
	v_and_b32_e32 v12, 64, v10
	v_and_b32_e32 v13, 8, v10
	v_lshlrev_b32_e32 v2, 2, v3
	s_delay_alu instid0(VALU_DEP_4)
	v_lshlrev_b32_e32 v1, 2, v1
	s_clause 0x1
	global_load_b32 v2, v2, s[0:1]
	global_load_b32 v1, v1, s[0:1]
	s_lshl_b64 s[0:1], s[4:5], 10
	s_wait_alu 0xfffe
	s_add_nc_u64 s[0:1], s[2:3], s[0:1]
	s_wait_loadcnt 0x1
	v_cvt_f32_ubyte1_e32 v15, v2
	s_wait_loadcnt 0x0
	v_cvt_f32_ubyte0_e32 v14, v1
	v_cvt_f32_ubyte1_e32 v16, v1
	v_cvt_f32_ubyte2_e32 v18, v1
	v_cvt_f32_ubyte3_e32 v1, v1
	v_lshlrev_b32_e32 v3, 2, v0
	v_and_b32_e32 v0, 0x3f8, v0
	v_cvt_f32_ubyte2_e32 v17, v2
	s_delay_alu instid0(VALU_DEP_3) | instskip(NEXT) | instid1(VALU_DEP_3)
	v_and_b32_e32 v3, 4, v3
	v_lshlrev_b32_e32 v0, 2, v0
	s_delay_alu instid0(VALU_DEP_2)
	v_lshrrev_b32_e32 v3, v3, v4
	s_wait_alu 0xfffe
	v_add_co_u32 v4, s0, s0, v5
	s_wait_alu 0xf1ff
	v_add_co_ci_u32_e64 v5, null, s1, 0, s0
	v_lshlrev_b32_e32 v3, 1, v3
	s_delay_alu instid0(VALU_DEP_3)
	v_add_co_u32 v8, vcc_lo, v4, v0
	v_and_b32_e32 v4, 1, v10
	s_wait_alu 0xfffd
	v_add_co_ci_u32_e64 v9, null, 0, v5, vcc_lo
	v_and_or_b32 v0, v3, 30, 1
	v_cvt_f32_f16_e32 v3, v7
	v_and_b32_e32 v5, 16, v10
	v_cmp_eq_u16_e32 vcc_lo, 0, v4
	v_and_b32_e32 v7, 32, v10
	v_cvt_f32_ubyte0_e32 v0, v0
	s_delay_alu instid0(VALU_DEP_1) | instskip(SKIP_2) | instid1(VALU_DEP_3)
	v_mul_f32_e32 v0, v3, v0
	v_cvt_f32_ubyte0_e32 v3, v2
	v_cvt_f32_ubyte3_e32 v2, v2
	v_mul_f32_e32 v14, v0, v14
	s_delay_alu instid0(VALU_DEP_3)
	v_mul_f32_e32 v3, v0, v3
	v_mul_f32_e32 v15, v0, v15
	;; [unrolled: 1-line block ×7, first 2 shown]
	s_wait_alu 0xfffd
	v_cndmask_b32_e64 v0, -v3, v3, vcc_lo
	v_cmp_eq_u16_e32 vcc_lo, 0, v5
	s_wait_alu 0xfffd
	v_cndmask_b32_e64 v4, -v14, v14, vcc_lo
	v_cmp_eq_u16_e32 vcc_lo, 0, v6
	;; [unrolled: 3-line block ×6, first 2 shown]
	s_wait_alu 0xfffd
	v_cndmask_b32_e64 v3, -v19, v19, vcc_lo
	v_cmp_gt_i16_e32 vcc_lo, 0, v10
	s_wait_alu 0xfffd
	v_cndmask_b32_e64 v7, v20, -v20, vcc_lo
	s_clause 0x1
	global_store_b128 v[8:9], v[0:3], off
	global_store_b128 v[8:9], v[4:7], off offset:16
	s_endpgm
	.section	.rodata,"a",@progbits
	.p2align	6, 0x0
	.amdhsa_kernel _ZL22dequantize_block_iq3_sIfEvPKvPT_
		.amdhsa_group_segment_fixed_size 0
		.amdhsa_private_segment_fixed_size 0
		.amdhsa_kernarg_size 16
		.amdhsa_user_sgpr_count 2
		.amdhsa_user_sgpr_dispatch_ptr 0
		.amdhsa_user_sgpr_queue_ptr 0
		.amdhsa_user_sgpr_kernarg_segment_ptr 1
		.amdhsa_user_sgpr_dispatch_id 0
		.amdhsa_user_sgpr_private_segment_size 0
		.amdhsa_wavefront_size32 1
		.amdhsa_uses_dynamic_stack 0
		.amdhsa_enable_private_segment 0
		.amdhsa_system_sgpr_workgroup_id_x 1
		.amdhsa_system_sgpr_workgroup_id_y 0
		.amdhsa_system_sgpr_workgroup_id_z 0
		.amdhsa_system_sgpr_workgroup_info 0
		.amdhsa_system_vgpr_workitem_id 0
		.amdhsa_next_free_vgpr 21
		.amdhsa_next_free_sgpr 8
		.amdhsa_reserve_vcc 1
		.amdhsa_float_round_mode_32 0
		.amdhsa_float_round_mode_16_64 0
		.amdhsa_float_denorm_mode_32 3
		.amdhsa_float_denorm_mode_16_64 3
		.amdhsa_fp16_overflow 0
		.amdhsa_workgroup_processor_mode 1
		.amdhsa_memory_ordered 1
		.amdhsa_forward_progress 1
		.amdhsa_inst_pref_size 6
		.amdhsa_round_robin_scheduling 0
		.amdhsa_exception_fp_ieee_invalid_op 0
		.amdhsa_exception_fp_denorm_src 0
		.amdhsa_exception_fp_ieee_div_zero 0
		.amdhsa_exception_fp_ieee_overflow 0
		.amdhsa_exception_fp_ieee_underflow 0
		.amdhsa_exception_fp_ieee_inexact 0
		.amdhsa_exception_int_div_zero 0
	.end_amdhsa_kernel
	.section	.text._ZL22dequantize_block_iq3_sIfEvPKvPT_,"axG",@progbits,_ZL22dequantize_block_iq3_sIfEvPKvPT_,comdat
.Lfunc_end35:
	.size	_ZL22dequantize_block_iq3_sIfEvPKvPT_, .Lfunc_end35-_ZL22dequantize_block_iq3_sIfEvPKvPT_
                                        ; -- End function
	.set _ZL22dequantize_block_iq3_sIfEvPKvPT_.num_vgpr, 21
	.set _ZL22dequantize_block_iq3_sIfEvPKvPT_.num_agpr, 0
	.set _ZL22dequantize_block_iq3_sIfEvPKvPT_.numbered_sgpr, 8
	.set _ZL22dequantize_block_iq3_sIfEvPKvPT_.num_named_barrier, 0
	.set _ZL22dequantize_block_iq3_sIfEvPKvPT_.private_seg_size, 0
	.set _ZL22dequantize_block_iq3_sIfEvPKvPT_.uses_vcc, 1
	.set _ZL22dequantize_block_iq3_sIfEvPKvPT_.uses_flat_scratch, 0
	.set _ZL22dequantize_block_iq3_sIfEvPKvPT_.has_dyn_sized_stack, 0
	.set _ZL22dequantize_block_iq3_sIfEvPKvPT_.has_recursion, 0
	.set _ZL22dequantize_block_iq3_sIfEvPKvPT_.has_indirect_call, 0
	.section	.AMDGPU.csdata,"",@progbits
; Kernel info:
; codeLenInByte = 760
; TotalNumSgprs: 10
; NumVgprs: 21
; ScratchSize: 0
; MemoryBound: 0
; FloatMode: 240
; IeeeMode: 1
; LDSByteSize: 0 bytes/workgroup (compile time only)
; SGPRBlocks: 0
; VGPRBlocks: 2
; NumSGPRsForWavesPerEU: 10
; NumVGPRsForWavesPerEU: 21
; Occupancy: 16
; WaveLimiterHint : 0
; COMPUTE_PGM_RSRC2:SCRATCH_EN: 0
; COMPUTE_PGM_RSRC2:USER_SGPR: 2
; COMPUTE_PGM_RSRC2:TRAP_HANDLER: 0
; COMPUTE_PGM_RSRC2:TGID_X_EN: 1
; COMPUTE_PGM_RSRC2:TGID_Y_EN: 0
; COMPUTE_PGM_RSRC2:TGID_Z_EN: 0
; COMPUTE_PGM_RSRC2:TIDIG_COMP_CNT: 0
	.section	.text._ZL22dequantize_block_mxfp4IfEvPKvPT_,"axG",@progbits,_ZL22dequantize_block_mxfp4IfEvPKvPT_,comdat
	.globl	_ZL22dequantize_block_mxfp4IfEvPKvPT_ ; -- Begin function _ZL22dequantize_block_mxfp4IfEvPKvPT_
	.p2align	8
	.type	_ZL22dequantize_block_mxfp4IfEvPKvPT_,@function
_ZL22dequantize_block_mxfp4IfEvPKvPT_:  ; @_ZL22dequantize_block_mxfp4IfEvPKvPT_
; %bb.0:
	s_load_b128 s[0:3], s[0:1], 0x0
	s_mov_b32 s4, ttmp9
	s_mov_b32 s5, 0
	v_and_b32_e32 v4, 7, v0
	s_mul_u64 s[6:7], s[4:5], 0x88
	v_lshrrev_b32_e32 v2, 1, v0
	s_delay_alu instid0(VALU_DEP_1) | instskip(SKIP_2) | instid1(SALU_CYCLE_1)
	v_and_b32_e32 v5, 0x1fc, v2
	s_wait_kmcnt 0x0
	s_add_nc_u64 s[0:1], s[0:1], s[6:7]
	v_mad_co_u64_u32 v[0:1], null, v4, 17, s[0:1]
	s_getpc_b64 s[0:1]
	s_wait_alu 0xfffe
	s_sext_i32_i16 s1, s1
	s_add_co_u32 s0, s0, _ZL13kvalues_mxfp4@rel32@lo+12
	s_wait_alu 0xfffe
	s_add_co_ci_u32 s1, s1, _ZL13kvalues_mxfp4@rel32@hi+24
	v_add_co_u32 v2, vcc_lo, v0, v5
	s_delay_alu instid0(VALU_DEP_1)
	v_add_co_ci_u32_e64 v3, null, 0, v1, vcc_lo
	v_lshlrev_b32_e32 v5, 2, v5
	s_clause 0x1
	global_load_b32 v2, v[2:3], off offset:1
	global_load_u8 v0, v[0:1], off
	s_wait_loadcnt 0x1
	v_bfe_u32 v3, v2, 4, 4
	s_wait_loadcnt 0x0
	v_lshlrev_b32_e32 v13, 23, v0
	v_and_b32_e32 v1, 15, v2
	v_bfe_u32 v6, v2, 8, 4
	v_bfe_u32 v7, v2, 12, 4
	;; [unrolled: 1-line block ×5, first 2 shown]
	v_lshrrev_b32_e32 v2, 28, v2
	s_clause 0x7
	global_load_i8 v1, v1, s[0:1]
	global_load_i8 v3, v3, s[0:1]
	;; [unrolled: 1-line block ×8, first 2 shown]
	s_lshl_b64 s[0:1], s[4:5], 10
	s_wait_alu 0xfffe
	s_add_nc_u64 s[0:1], s[2:3], s[0:1]
	s_wait_loadcnt 0x7
	v_cvt_f32_i32_e32 v1, v1
	s_wait_loadcnt 0x6
	v_cvt_f32_i32_e32 v3, v3
	v_lshlrev_b32_e32 v4, 7, v4
	s_wait_loadcnt 0x1
	v_cvt_f32_i32_e32 v10, v10
	s_wait_alu 0xfffe
	s_delay_alu instid0(VALU_DEP_2)
	v_add_co_u32 v4, s0, s0, v4
	s_wait_alu 0xf1ff
	v_add_co_ci_u32_e64 v9, null, s1, 0, s0
	s_wait_loadcnt 0x0
	v_cvt_f32_i32_e32 v2, v2
	v_add_co_u32 v8, vcc_lo, v4, v5
	s_wait_alu 0xfffd
	v_add_co_ci_u32_e64 v9, null, 0, v9, vcc_lo
	v_cmp_ne_u32_e32 vcc_lo, 0, v0
	v_cvt_f32_i32_e32 v4, v6
	v_cvt_f32_i32_e32 v6, v11
	;; [unrolled: 1-line block ×4, first 2 shown]
	s_wait_alu 0xfffd
	v_cndmask_b32_e32 v0, 0x400000, v13, vcc_lo
	s_delay_alu instid0(VALU_DEP_1)
	v_mul_f32_e32 v3, v0, v3
	v_mul_f32_e32 v1, v0, v1
	;; [unrolled: 1-line block ×7, first 2 shown]
	v_mul_f32_e32 v4, 0.5, v3
	v_mul_f32_e32 v12, v0, v2
	v_dual_mul_f32 v0, 0.5, v1 :: v_dual_mul_f32 v1, 0.5, v11
	v_mul_f32_e32 v2, 0.5, v6
	v_mul_f32_e32 v3, 0.5, v10
	v_dual_mul_f32 v5, 0.5, v5 :: v_dual_mul_f32 v6, 0.5, v7
	v_mul_f32_e32 v7, 0.5, v12
	s_clause 0x1
	global_store_b128 v[8:9], v[0:3], off
	global_store_b128 v[8:9], v[4:7], off offset:64
	s_endpgm
	.section	.rodata,"a",@progbits
	.p2align	6, 0x0
	.amdhsa_kernel _ZL22dequantize_block_mxfp4IfEvPKvPT_
		.amdhsa_group_segment_fixed_size 0
		.amdhsa_private_segment_fixed_size 0
		.amdhsa_kernarg_size 16
		.amdhsa_user_sgpr_count 2
		.amdhsa_user_sgpr_dispatch_ptr 0
		.amdhsa_user_sgpr_queue_ptr 0
		.amdhsa_user_sgpr_kernarg_segment_ptr 1
		.amdhsa_user_sgpr_dispatch_id 0
		.amdhsa_user_sgpr_private_segment_size 0
		.amdhsa_wavefront_size32 1
		.amdhsa_uses_dynamic_stack 0
		.amdhsa_enable_private_segment 0
		.amdhsa_system_sgpr_workgroup_id_x 1
		.amdhsa_system_sgpr_workgroup_id_y 0
		.amdhsa_system_sgpr_workgroup_id_z 0
		.amdhsa_system_sgpr_workgroup_info 0
		.amdhsa_system_vgpr_workitem_id 0
		.amdhsa_next_free_vgpr 14
		.amdhsa_next_free_sgpr 8
		.amdhsa_reserve_vcc 1
		.amdhsa_float_round_mode_32 0
		.amdhsa_float_round_mode_16_64 0
		.amdhsa_float_denorm_mode_32 3
		.amdhsa_float_denorm_mode_16_64 3
		.amdhsa_fp16_overflow 0
		.amdhsa_workgroup_processor_mode 1
		.amdhsa_memory_ordered 1
		.amdhsa_forward_progress 1
		.amdhsa_inst_pref_size 5
		.amdhsa_round_robin_scheduling 0
		.amdhsa_exception_fp_ieee_invalid_op 0
		.amdhsa_exception_fp_denorm_src 0
		.amdhsa_exception_fp_ieee_div_zero 0
		.amdhsa_exception_fp_ieee_overflow 0
		.amdhsa_exception_fp_ieee_underflow 0
		.amdhsa_exception_fp_ieee_inexact 0
		.amdhsa_exception_int_div_zero 0
	.end_amdhsa_kernel
	.section	.text._ZL22dequantize_block_mxfp4IfEvPKvPT_,"axG",@progbits,_ZL22dequantize_block_mxfp4IfEvPKvPT_,comdat
.Lfunc_end36:
	.size	_ZL22dequantize_block_mxfp4IfEvPKvPT_, .Lfunc_end36-_ZL22dequantize_block_mxfp4IfEvPKvPT_
                                        ; -- End function
	.set _ZL22dequantize_block_mxfp4IfEvPKvPT_.num_vgpr, 14
	.set _ZL22dequantize_block_mxfp4IfEvPKvPT_.num_agpr, 0
	.set _ZL22dequantize_block_mxfp4IfEvPKvPT_.numbered_sgpr, 8
	.set _ZL22dequantize_block_mxfp4IfEvPKvPT_.num_named_barrier, 0
	.set _ZL22dequantize_block_mxfp4IfEvPKvPT_.private_seg_size, 0
	.set _ZL22dequantize_block_mxfp4IfEvPKvPT_.uses_vcc, 1
	.set _ZL22dequantize_block_mxfp4IfEvPKvPT_.uses_flat_scratch, 0
	.set _ZL22dequantize_block_mxfp4IfEvPKvPT_.has_dyn_sized_stack, 0
	.set _ZL22dequantize_block_mxfp4IfEvPKvPT_.has_recursion, 0
	.set _ZL22dequantize_block_mxfp4IfEvPKvPT_.has_indirect_call, 0
	.section	.AMDGPU.csdata,"",@progbits
; Kernel info:
; codeLenInByte = 540
; TotalNumSgprs: 10
; NumVgprs: 14
; ScratchSize: 0
; MemoryBound: 0
; FloatMode: 240
; IeeeMode: 1
; LDSByteSize: 0 bytes/workgroup (compile time only)
; SGPRBlocks: 0
; VGPRBlocks: 1
; NumSGPRsForWavesPerEU: 10
; NumVGPRsForWavesPerEU: 14
; Occupancy: 16
; WaveLimiterHint : 0
; COMPUTE_PGM_RSRC2:SCRATCH_EN: 0
; COMPUTE_PGM_RSRC2:USER_SGPR: 2
; COMPUTE_PGM_RSRC2:TRAP_HANDLER: 0
; COMPUTE_PGM_RSRC2:TGID_X_EN: 1
; COMPUTE_PGM_RSRC2:TGID_Y_EN: 0
; COMPUTE_PGM_RSRC2:TGID_Z_EN: 0
; COMPUTE_PGM_RSRC2:TIDIG_COMP_CNT: 0
	.section	.text._ZL22dequantize_block_nvfp4IfEvPKvPT_l,"axG",@progbits,_ZL22dequantize_block_nvfp4IfEvPKvPT_l,comdat
	.globl	_ZL22dequantize_block_nvfp4IfEvPKvPT_l ; -- Begin function _ZL22dequantize_block_nvfp4IfEvPKvPT_l
	.p2align	8
	.type	_ZL22dequantize_block_nvfp4IfEvPKvPT_l,@function
_ZL22dequantize_block_nvfp4IfEvPKvPT_l: ; @_ZL22dequantize_block_nvfp4IfEvPKvPT_l
; %bb.0:
	s_load_b64 s[4:5], s[0:1], 0x10
	s_mov_b32 s6, ttmp9
	s_mov_b32 s7, 0
	s_delay_alu instid0(SALU_CYCLE_1)
	s_lshl_b64 s[2:3], s[6:7], 6
	s_wait_kmcnt 0x0
	v_cmp_ge_i64_e64 s4, s[2:3], s[4:5]
	s_and_b32 vcc_lo, exec_lo, s4
	s_cbranch_vccnz .LBB37_8
; %bb.1:
	s_load_b64 s[4:5], s[0:1], 0x0
	v_lshrrev_b32_e32 v1, 3, v0
	s_mul_u64 s[8:9], s[6:7], 36
	s_mov_b32 s6, exec_lo
	s_wait_kmcnt 0x0
	s_add_nc_u64 s[4:5], s[4:5], s[8:9]
	global_load_u8 v3, v1, s[4:5]
	s_wait_loadcnt 0x0
	v_cmpx_lt_i16_e32 0x7e, v3
	s_xor_b32 s6, exec_lo, s6
; %bb.2:
	v_cmp_ne_u16_e32 vcc_lo, 0x7f, v3
	s_and_b32 s7, vcc_lo, exec_lo
; %bb.3:
	s_and_not1_saveexec_b32 s6, s6
; %bb.4:
	v_cmp_ne_u16_e32 vcc_lo, 0, v3
	s_and_not1_b32 s7, s7, exec_lo
	s_and_b32 s8, vcc_lo, exec_lo
	s_delay_alu instid0(SALU_CYCLE_1)
	s_or_b32 s7, s7, s8
; %bb.5:
	s_or_b32 exec_lo, exec_lo, s6
	s_load_b64 s[0:1], s[0:1], 0x8
	v_mov_b32_e32 v2, 0
	s_and_saveexec_b32 s6, s7
	s_cbranch_execz .LBB37_7
; %bb.6:
	v_and_b32_e32 v2, 0xffff, v3
	s_delay_alu instid0(VALU_DEP_1) | instskip(SKIP_1) | instid1(VALU_DEP_2)
	v_dual_mov_b32 v4, 1.0 :: v_dual_and_b32 v3, 7, v2
	v_bfe_u32 v2, v2, 3, 4
	v_cvt_f32_ubyte0_e32 v3, v3
	s_delay_alu instid0(VALU_DEP_2) | instskip(SKIP_1) | instid1(VALU_DEP_3)
	v_add_nc_u32_e32 v5, -7, v2
	v_cmp_eq_u32_e32 vcc_lo, 0, v2
	v_fmamk_f32 v4, v3, 0x3e000000, v4
	s_delay_alu instid0(VALU_DEP_1) | instskip(NEXT) | instid1(VALU_DEP_4)
	v_cndmask_b32_e32 v2, v4, v3, vcc_lo
	v_cndmask_b32_e64 v3, v5, -9, vcc_lo
	s_delay_alu instid0(VALU_DEP_1) | instskip(NEXT) | instid1(VALU_DEP_1)
	v_ldexp_f32 v2, v2, v3
	v_mul_f32_e32 v2, 0.5, v2
.LBB37_7:
	s_or_b32 exec_lo, exec_lo, s6
	global_load_u8 v5, v0, s[4:5] offset:4
	s_getpc_b64 s[4:5]
	s_wait_alu 0xfffe
	s_sext_i32_i16 s5, s5
	s_add_co_u32 s4, s4, _ZL13kvalues_mxfp4@rel32@lo+12
	s_wait_alu 0xfffe
	s_add_co_ci_u32 s5, s5, _ZL13kvalues_mxfp4@rel32@hi+24
	v_lshlrev_b32_e32 v1, 6, v1
	s_lshl_b64 s[2:3], s[2:3], 2
	s_wait_kmcnt 0x0
	s_wait_alu 0xfffe
	s_add_nc_u64 s[0:1], s[0:1], s[2:3]
	s_delay_alu instid0(SALU_CYCLE_1) | instskip(SKIP_3) | instid1(VALU_DEP_2)
	v_add_co_u32 v1, s0, s0, v1
	s_wait_loadcnt 0x0
	v_and_b32_e32 v3, 15, v5
	v_lshrrev_b32_e32 v5, 4, v5
	v_add_co_u32 v3, s6, s4, v3
	s_delay_alu instid0(VALU_DEP_1)
	v_add_co_ci_u32_e64 v4, null, s5, 0, s6
	s_clause 0x1
	global_load_i8 v3, v[3:4], off
	global_load_i8 v4, v5, s[4:5]
	s_wait_alu 0xf1ff
	v_add_co_ci_u32_e64 v5, null, s1, 0, s0
	s_wait_loadcnt 0x1
	v_cvt_f32_i32_e32 v3, v3
	v_and_b32_e32 v0, 7, v0
	s_wait_loadcnt 0x0
	v_cvt_f32_i32_e32 v4, v4
	s_delay_alu instid0(VALU_DEP_2) | instskip(NEXT) | instid1(VALU_DEP_2)
	v_dual_mul_f32 v3, v2, v3 :: v_dual_lshlrev_b32 v0, 2, v0
	v_mul_f32_e32 v2, v2, v4
	s_delay_alu instid0(VALU_DEP_2)
	v_add_co_u32 v0, vcc_lo, v1, v0
	s_wait_alu 0xfffd
	v_add_co_ci_u32_e64 v1, null, 0, v5, vcc_lo
	s_clause 0x1
	global_store_b32 v[0:1], v3, off
	global_store_b32 v[0:1], v2, off offset:32
.LBB37_8:
	s_endpgm
	.section	.rodata,"a",@progbits
	.p2align	6, 0x0
	.amdhsa_kernel _ZL22dequantize_block_nvfp4IfEvPKvPT_l
		.amdhsa_group_segment_fixed_size 0
		.amdhsa_private_segment_fixed_size 0
		.amdhsa_kernarg_size 24
		.amdhsa_user_sgpr_count 2
		.amdhsa_user_sgpr_dispatch_ptr 0
		.amdhsa_user_sgpr_queue_ptr 0
		.amdhsa_user_sgpr_kernarg_segment_ptr 1
		.amdhsa_user_sgpr_dispatch_id 0
		.amdhsa_user_sgpr_private_segment_size 0
		.amdhsa_wavefront_size32 1
		.amdhsa_uses_dynamic_stack 0
		.amdhsa_enable_private_segment 0
		.amdhsa_system_sgpr_workgroup_id_x 1
		.amdhsa_system_sgpr_workgroup_id_y 0
		.amdhsa_system_sgpr_workgroup_id_z 0
		.amdhsa_system_sgpr_workgroup_info 0
		.amdhsa_system_vgpr_workitem_id 0
		.amdhsa_next_free_vgpr 6
		.amdhsa_next_free_sgpr 10
		.amdhsa_reserve_vcc 1
		.amdhsa_float_round_mode_32 0
		.amdhsa_float_round_mode_16_64 0
		.amdhsa_float_denorm_mode_32 3
		.amdhsa_float_denorm_mode_16_64 3
		.amdhsa_fp16_overflow 0
		.amdhsa_workgroup_processor_mode 1
		.amdhsa_memory_ordered 1
		.amdhsa_forward_progress 1
		.amdhsa_inst_pref_size 4
		.amdhsa_round_robin_scheduling 0
		.amdhsa_exception_fp_ieee_invalid_op 0
		.amdhsa_exception_fp_denorm_src 0
		.amdhsa_exception_fp_ieee_div_zero 0
		.amdhsa_exception_fp_ieee_overflow 0
		.amdhsa_exception_fp_ieee_underflow 0
		.amdhsa_exception_fp_ieee_inexact 0
		.amdhsa_exception_int_div_zero 0
	.end_amdhsa_kernel
	.section	.text._ZL22dequantize_block_nvfp4IfEvPKvPT_l,"axG",@progbits,_ZL22dequantize_block_nvfp4IfEvPKvPT_l,comdat
.Lfunc_end37:
	.size	_ZL22dequantize_block_nvfp4IfEvPKvPT_l, .Lfunc_end37-_ZL22dequantize_block_nvfp4IfEvPKvPT_l
                                        ; -- End function
	.set _ZL22dequantize_block_nvfp4IfEvPKvPT_l.num_vgpr, 6
	.set _ZL22dequantize_block_nvfp4IfEvPKvPT_l.num_agpr, 0
	.set _ZL22dequantize_block_nvfp4IfEvPKvPT_l.numbered_sgpr, 10
	.set _ZL22dequantize_block_nvfp4IfEvPKvPT_l.num_named_barrier, 0
	.set _ZL22dequantize_block_nvfp4IfEvPKvPT_l.private_seg_size, 0
	.set _ZL22dequantize_block_nvfp4IfEvPKvPT_l.uses_vcc, 1
	.set _ZL22dequantize_block_nvfp4IfEvPKvPT_l.uses_flat_scratch, 0
	.set _ZL22dequantize_block_nvfp4IfEvPKvPT_l.has_dyn_sized_stack, 0
	.set _ZL22dequantize_block_nvfp4IfEvPKvPT_l.has_recursion, 0
	.set _ZL22dequantize_block_nvfp4IfEvPKvPT_l.has_indirect_call, 0
	.section	.AMDGPU.csdata,"",@progbits
; Kernel info:
; codeLenInByte = 488
; TotalNumSgprs: 12
; NumVgprs: 6
; ScratchSize: 0
; MemoryBound: 0
; FloatMode: 240
; IeeeMode: 1
; LDSByteSize: 0 bytes/workgroup (compile time only)
; SGPRBlocks: 0
; VGPRBlocks: 0
; NumSGPRsForWavesPerEU: 12
; NumVGPRsForWavesPerEU: 6
; Occupancy: 16
; WaveLimiterHint : 0
; COMPUTE_PGM_RSRC2:SCRATCH_EN: 0
; COMPUTE_PGM_RSRC2:USER_SGPR: 2
; COMPUTE_PGM_RSRC2:TRAP_HANDLER: 0
; COMPUTE_PGM_RSRC2:TGID_X_EN: 1
; COMPUTE_PGM_RSRC2:TGID_Y_EN: 0
; COMPUTE_PGM_RSRC2:TGID_Z_EN: 0
; COMPUTE_PGM_RSRC2:TIDIG_COMP_CNT: 0
	.section	.text._ZL13convert_unaryIf6__halfEvPKvPT0_lll15HIP_vector_typeIjLj3EElll,"axG",@progbits,_ZL13convert_unaryIf6__halfEvPKvPT0_lll15HIP_vector_typeIjLj3EElll,comdat
	.globl	_ZL13convert_unaryIf6__halfEvPKvPT0_lll15HIP_vector_typeIjLj3EElll ; -- Begin function _ZL13convert_unaryIf6__halfEvPKvPT0_lll15HIP_vector_typeIjLj3EElll
	.p2align	8
	.type	_ZL13convert_unaryIf6__halfEvPKvPT0_lll15HIP_vector_typeIjLj3EElll,@function
_ZL13convert_unaryIf6__halfEvPKvPT0_lll15HIP_vector_typeIjLj3EElll: ; @_ZL13convert_unaryIf6__halfEvPKvPT0_lll15HIP_vector_typeIjLj3EElll
; %bb.0:
	s_clause 0x1
	s_load_b32 s2, s[0:1], 0x5c
	s_load_b128 s[4:7], s[0:1], 0x10
	v_mov_b32_e32 v1, 0
	s_wait_kmcnt 0x0
	s_and_b32 s2, s2, 0xffff
	s_delay_alu instid0(VALU_DEP_1) | instid1(SALU_CYCLE_1)
	v_mad_co_u64_u32 v[0:1], null, s2, ttmp9, v[0:1]
	s_mov_b32 s2, exec_lo
	v_cmpx_gt_i64_e64 s[4:5], v[0:1]
	s_cbranch_execz .LBB38_7
; %bb.1:
	s_load_b64 s[2:3], s[0:1], 0x20
	s_mov_b32 s21, 0
	s_and_b32 s20, ttmp7, 0xffff
	s_delay_alu instid0(SALU_CYCLE_1)
	v_cmp_le_i64_e64 s8, s[6:7], s[20:21]
	s_and_b32 vcc_lo, exec_lo, s8
	s_cbranch_vccnz .LBB38_7
; %bb.2:
	s_add_nc_u64 s[22:23], s[0:1], 0x50
	s_clause 0x1
	s_load_b96 s[16:18], s[0:1], 0x28
	s_load_b128 s[8:11], s[0:1], 0x0
	s_load_b32 s24, s[22:23], 0x4
	s_clause 0x1
	s_load_b128 s[12:15], s[0:1], 0x38
	s_load_b64 s[26:27], s[0:1], 0x48
	s_lshr_b32 s28, ttmp7, 16
	s_mov_b32 s29, s21
	v_lshlrev_b64_e32 v[2:3], 1, v[0:1]
	s_mul_u64 s[0:1], s[6:7], s[28:29]
	s_mov_b32 s25, s21
	s_wait_alu 0xfffe
	s_add_nc_u64 s[0:1], s[0:1], s[20:21]
	v_lshlrev_b64_e32 v[0:1], 2, v[0:1]
	s_wait_alu 0xfffe
	s_mul_u64 s[0:1], s[4:5], s[0:1]
	s_mul_u64 s[34:35], s[6:7], s[4:5]
	s_wait_alu 0xfffe
	s_lshl_b64 s[0:1], s[0:1], 1
	s_mov_b32 s31, s21
	s_wait_kmcnt 0x0
	s_mov_b32 s30, s16
	s_wait_alu 0xfffe
	s_add_nc_u64 s[0:1], s[10:11], s[0:1]
	s_mul_u64 s[4:5], s[4:5], s[24:25]
	s_wait_alu 0xfffe
	v_add_co_u32 v2, vcc_lo, s0, v2
	s_delay_alu instid0(VALU_DEP_1)
	v_add_co_ci_u32_e64 v3, null, s1, v3, vcc_lo
	v_cmp_gt_i64_e64 s1, s[2:3], s[28:29]
	s_lshl_b64 s[4:5], s[4:5], 1
	s_lshl_b64 s[10:11], s[34:35], 1
	s_sub_co_i32 s16, 0, s18
	s_mov_b64 s[18:19], s[20:21]
	s_branch .LBB38_4
.LBB38_3:                               ;   in Loop: Header=BB38_4 Depth=1
	s_add_nc_u64 s[18:19], s[18:19], s[24:25]
	v_add_co_u32 v2, vcc_lo, v2, s4
	s_wait_alu 0xfffe
	v_cmp_ge_i64_e64 s0, s[18:19], s[6:7]
	s_wait_alu 0xfffd
	v_add_co_ci_u32_e64 v3, null, s5, v3, vcc_lo
	s_and_b32 vcc_lo, exec_lo, s0
	s_wait_alu 0xfffe
	s_cbranch_vccnz .LBB38_7
.LBB38_4:                               ; =>This Loop Header: Depth=1
                                        ;     Child Loop BB38_6 Depth 2
	s_and_not1_b32 vcc_lo, exec_lo, s1
	s_wait_alu 0xfffe
	s_cbranch_vccnz .LBB38_3
; %bb.5:                                ;   in Loop: Header=BB38_4 Depth=1
	s_load_b32 s34, s[22:23], 0x8
	v_dual_mov_b32 v5, v3 :: v_dual_mov_b32 v4, v2
	s_mul_u64 s[36:37], s[18:19], s[12:13]
	s_mov_b32 s35, s21
	s_lshl_b64 s[36:37], s[36:37], 2
	s_mov_b64 s[40:41], s[28:29]
	s_wait_kmcnt 0x0
	s_mul_u64 s[38:39], s[10:11], s[34:35]
.LBB38_6:                               ;   Parent Loop BB38_4 Depth=1
                                        ; =>  This Inner Loop Header: Depth=2
	s_wait_alu 0xfffe
	s_mov_b32 s20, s40
	s_mov_b32 s43, s21
	s_wait_alu 0xfffe
	s_mul_u64 s[44:45], s[30:31], s[20:21]
	s_delay_alu instid0(SALU_CYCLE_1)
	s_add_co_i32 s0, s40, s45
	s_wait_alu 0xfffe
	s_lshr_b32 s42, s0, s17
	s_wait_alu 0xfffe
	s_mul_i32 s0, s16, s42
	s_mul_u64 s[42:43], s[26:27], s[42:43]
	s_wait_alu 0xfffe
	s_add_co_i32 s20, s40, s0
	s_lshl_b64 s[42:43], s[42:43], 2
	s_wait_alu 0xfffe
	s_mul_u64 s[44:45], s[14:15], s[20:21]
	s_add_nc_u64 s[42:43], s[8:9], s[42:43]
	s_lshl_b64 s[44:45], s[44:45], 2
	s_add_nc_u64 s[40:41], s[40:41], s[34:35]
	s_wait_alu 0xfffe
	s_add_nc_u64 s[42:43], s[42:43], s[44:45]
	v_cmp_ge_i64_e64 s0, s[40:41], s[2:3]
	s_wait_alu 0xfffe
	s_add_nc_u64 s[42:43], s[42:43], s[36:37]
	s_wait_alu 0xfffe
	v_add_co_u32 v6, vcc_lo, s42, v0
	s_wait_alu 0xfffd
	v_add_co_ci_u32_e64 v7, null, s43, v1, vcc_lo
	s_and_b32 vcc_lo, exec_lo, s0
	global_load_b32 v6, v[6:7], off
	s_wait_loadcnt 0x0
	v_cvt_f16_f32_e32 v6, v6
	global_store_b16 v[4:5], v6, off
	v_add_co_u32 v4, s0, v4, s38
	s_wait_alu 0xf1ff
	v_add_co_ci_u32_e64 v5, null, s39, v5, s0
	s_wait_alu 0xfffe
	s_cbranch_vccz .LBB38_6
	s_branch .LBB38_3
.LBB38_7:
	s_endpgm
	.section	.rodata,"a",@progbits
	.p2align	6, 0x0
	.amdhsa_kernel _ZL13convert_unaryIf6__halfEvPKvPT0_lll15HIP_vector_typeIjLj3EElll
		.amdhsa_group_segment_fixed_size 0
		.amdhsa_private_segment_fixed_size 0
		.amdhsa_kernarg_size 336
		.amdhsa_user_sgpr_count 2
		.amdhsa_user_sgpr_dispatch_ptr 0
		.amdhsa_user_sgpr_queue_ptr 0
		.amdhsa_user_sgpr_kernarg_segment_ptr 1
		.amdhsa_user_sgpr_dispatch_id 0
		.amdhsa_user_sgpr_private_segment_size 0
		.amdhsa_wavefront_size32 1
		.amdhsa_uses_dynamic_stack 0
		.amdhsa_enable_private_segment 0
		.amdhsa_system_sgpr_workgroup_id_x 1
		.amdhsa_system_sgpr_workgroup_id_y 1
		.amdhsa_system_sgpr_workgroup_id_z 1
		.amdhsa_system_sgpr_workgroup_info 0
		.amdhsa_system_vgpr_workitem_id 0
		.amdhsa_next_free_vgpr 8
		.amdhsa_next_free_sgpr 46
		.amdhsa_reserve_vcc 1
		.amdhsa_float_round_mode_32 0
		.amdhsa_float_round_mode_16_64 0
		.amdhsa_float_denorm_mode_32 3
		.amdhsa_float_denorm_mode_16_64 3
		.amdhsa_fp16_overflow 0
		.amdhsa_workgroup_processor_mode 1
		.amdhsa_memory_ordered 1
		.amdhsa_forward_progress 1
		.amdhsa_inst_pref_size 5
		.amdhsa_round_robin_scheduling 0
		.amdhsa_exception_fp_ieee_invalid_op 0
		.amdhsa_exception_fp_denorm_src 0
		.amdhsa_exception_fp_ieee_div_zero 0
		.amdhsa_exception_fp_ieee_overflow 0
		.amdhsa_exception_fp_ieee_underflow 0
		.amdhsa_exception_fp_ieee_inexact 0
		.amdhsa_exception_int_div_zero 0
	.end_amdhsa_kernel
	.section	.text._ZL13convert_unaryIf6__halfEvPKvPT0_lll15HIP_vector_typeIjLj3EElll,"axG",@progbits,_ZL13convert_unaryIf6__halfEvPKvPT0_lll15HIP_vector_typeIjLj3EElll,comdat
.Lfunc_end38:
	.size	_ZL13convert_unaryIf6__halfEvPKvPT0_lll15HIP_vector_typeIjLj3EElll, .Lfunc_end38-_ZL13convert_unaryIf6__halfEvPKvPT0_lll15HIP_vector_typeIjLj3EElll
                                        ; -- End function
	.set _ZL13convert_unaryIf6__halfEvPKvPT0_lll15HIP_vector_typeIjLj3EElll.num_vgpr, 8
	.set _ZL13convert_unaryIf6__halfEvPKvPT0_lll15HIP_vector_typeIjLj3EElll.num_agpr, 0
	.set _ZL13convert_unaryIf6__halfEvPKvPT0_lll15HIP_vector_typeIjLj3EElll.numbered_sgpr, 46
	.set _ZL13convert_unaryIf6__halfEvPKvPT0_lll15HIP_vector_typeIjLj3EElll.num_named_barrier, 0
	.set _ZL13convert_unaryIf6__halfEvPKvPT0_lll15HIP_vector_typeIjLj3EElll.private_seg_size, 0
	.set _ZL13convert_unaryIf6__halfEvPKvPT0_lll15HIP_vector_typeIjLj3EElll.uses_vcc, 1
	.set _ZL13convert_unaryIf6__halfEvPKvPT0_lll15HIP_vector_typeIjLj3EElll.uses_flat_scratch, 0
	.set _ZL13convert_unaryIf6__halfEvPKvPT0_lll15HIP_vector_typeIjLj3EElll.has_dyn_sized_stack, 0
	.set _ZL13convert_unaryIf6__halfEvPKvPT0_lll15HIP_vector_typeIjLj3EElll.has_recursion, 0
	.set _ZL13convert_unaryIf6__halfEvPKvPT0_lll15HIP_vector_typeIjLj3EElll.has_indirect_call, 0
	.section	.AMDGPU.csdata,"",@progbits
; Kernel info:
; codeLenInByte = 588
; TotalNumSgprs: 48
; NumVgprs: 8
; ScratchSize: 0
; MemoryBound: 0
; FloatMode: 240
; IeeeMode: 1
; LDSByteSize: 0 bytes/workgroup (compile time only)
; SGPRBlocks: 0
; VGPRBlocks: 0
; NumSGPRsForWavesPerEU: 48
; NumVGPRsForWavesPerEU: 8
; Occupancy: 16
; WaveLimiterHint : 0
; COMPUTE_PGM_RSRC2:SCRATCH_EN: 0
; COMPUTE_PGM_RSRC2:USER_SGPR: 2
; COMPUTE_PGM_RSRC2:TRAP_HANDLER: 0
; COMPUTE_PGM_RSRC2:TGID_X_EN: 1
; COMPUTE_PGM_RSRC2:TGID_Y_EN: 1
; COMPUTE_PGM_RSRC2:TGID_Z_EN: 1
; COMPUTE_PGM_RSRC2:TIDIG_COMP_CNT: 0
	.section	.text._ZL16dequantize_blockILi128ELi1EXadL_ZL15dequantize_q1_0PKvliR15HIP_vector_typeIfLj2EEEE6__halfEvS1_PT2_lllS2_IjLj3EElll,"axG",@progbits,_ZL16dequantize_blockILi128ELi1EXadL_ZL15dequantize_q1_0PKvliR15HIP_vector_typeIfLj2EEEE6__halfEvS1_PT2_lllS2_IjLj3EElll,comdat
	.globl	_ZL16dequantize_blockILi128ELi1EXadL_ZL15dequantize_q1_0PKvliR15HIP_vector_typeIfLj2EEEE6__halfEvS1_PT2_lllS2_IjLj3EElll ; -- Begin function _ZL16dequantize_blockILi128ELi1EXadL_ZL15dequantize_q1_0PKvliR15HIP_vector_typeIfLj2EEEE6__halfEvS1_PT2_lllS2_IjLj3EElll
	.p2align	8
	.type	_ZL16dequantize_blockILi128ELi1EXadL_ZL15dequantize_q1_0PKvliR15HIP_vector_typeIfLj2EEEE6__halfEvS1_PT2_lllS2_IjLj3EElll,@function
_ZL16dequantize_blockILi128ELi1EXadL_ZL15dequantize_q1_0PKvliR15HIP_vector_typeIfLj2EEEE6__halfEvS1_PT2_lllS2_IjLj3EElll: ; @_ZL16dequantize_blockILi128ELi1EXadL_ZL15dequantize_q1_0PKvliR15HIP_vector_typeIfLj2EEEE6__halfEvS1_PT2_lllS2_IjLj3EElll
; %bb.0:
	s_clause 0x1
	s_load_b32 s19, s[0:1], 0x5c
	s_load_b128 s[4:7], s[0:1], 0x10
	v_mov_b32_e32 v1, 0
	s_wait_kmcnt 0x0
	s_and_b32 s2, s19, 0xffff
	s_delay_alu instid0(VALU_DEP_1) | instid1(SALU_CYCLE_1)
	v_mad_co_u64_u32 v[1:2], null, s2, ttmp9, v[0:1]
	s_mov_b32 s2, exec_lo
	v_lshlrev_b64_e32 v[3:4], 1, v[1:2]
	s_delay_alu instid0(VALU_DEP_1)
	v_cmpx_gt_i64_e64 s[4:5], v[3:4]
	s_cbranch_execz .LBB39_7
; %bb.1:
	s_load_b64 s[2:3], s[0:1], 0x20
	s_mov_b32 s21, 0
	s_and_b32 s20, ttmp7, 0xffff
	s_delay_alu instid0(SALU_CYCLE_1)
	v_cmp_le_i64_e64 s8, s[6:7], s[20:21]
	s_and_b32 vcc_lo, exec_lo, s8
	s_cbranch_vccnz .LBB39_7
; %bb.2:
	s_mul_i32 s19, ttmp9, s19
	v_lshrrev_b64 v[1:2], 6, v[1:2]
	v_add_nc_u16 v4, s19, v0
	s_clause 0x1
	s_load_b96 s[16:18], s[0:1], 0x28
	s_load_b128 s[8:11], s[0:1], 0x0
	s_lshr_b32 s26, ttmp7, 16
	s_mov_b32 s27, s21
	s_add_nc_u64 s[22:23], s[0:1], 0x50
	s_clause 0x1
	s_load_b128 s[12:15], s[0:1], 0x38
	s_load_b64 s[24:25], s[0:1], 0x48
	s_mul_u64 s[0:1], s[6:7], s[26:27]
	s_load_b32 s30, s[22:23], 0x4
	s_add_nc_u64 s[0:1], s[0:1], s[20:21]
	v_and_b32_e32 v6, 63, v4
	v_lshlrev_b64_e32 v[4:5], 8, v[1:2]
	s_wait_alu 0xfffe
	s_mul_u64 s[0:1], s[4:5], s[0:1]
	v_bfe_u32 v0, v3, 3, 4
	s_wait_alu 0xfffe
	s_lshl_b64 s[0:1], s[0:1], 1
	v_and_b32_e32 v7, 6, v3
	v_lshlrev_b32_e32 v3, 2, v6
	s_wait_alu 0xfffe
	v_add_co_u32 v4, vcc_lo, s0, v4
	s_delay_alu instid0(VALU_DEP_1)
	v_add_co_ci_u32_e64 v5, null, s1, v5, vcc_lo
	s_mov_b32 s31, s21
	v_add_co_u32 v3, vcc_lo, v4, v3
	s_wait_alu 0xfffd
	v_add_co_ci_u32_e64 v4, null, 0, v5, vcc_lo
	v_or_b32_e32 v8, 1, v7
	s_wait_kmcnt 0x0
	v_add_co_u32 v3, vcc_lo, s10, v3
	s_wait_alu 0xfffd
	v_add_co_ci_u32_e64 v4, null, s11, v4, vcc_lo
	s_mul_u64 s[0:1], s[4:5], s[30:31]
	v_add_co_u32 v3, vcc_lo, v3, 2
	s_wait_alu 0xfffe
	s_lshl_b64 s[10:11], s[0:1], 1
	v_cmp_gt_i64_e64 s1, s[2:3], s[26:27]
	s_wait_alu 0xfffd
	v_add_co_ci_u32_e64 v4, null, 0, v4, vcc_lo
	s_mul_u64 s[4:5], s[6:7], s[4:5]
	s_mov_b32 s29, s21
	s_mov_b32 s28, s16
	s_wait_alu 0xfffe
	s_lshl_b64 s[4:5], s[4:5], 1
	s_sub_co_i32 s16, 0, s18
	s_mov_b64 s[18:19], s[20:21]
	s_branch .LBB39_4
.LBB39_3:                               ;   in Loop: Header=BB39_4 Depth=1
	s_add_nc_u64 s[18:19], s[18:19], s[30:31]
	v_add_co_u32 v3, vcc_lo, v3, s10
	s_wait_alu 0xfffe
	v_cmp_ge_i64_e64 s0, s[18:19], s[6:7]
	s_wait_alu 0xfffd
	v_add_co_ci_u32_e64 v4, null, s11, v4, vcc_lo
	s_and_b32 vcc_lo, exec_lo, s0
	s_wait_alu 0xfffe
	s_cbranch_vccnz .LBB39_7
.LBB39_4:                               ; =>This Loop Header: Depth=1
                                        ;     Child Loop BB39_6 Depth 2
	s_and_not1_b32 vcc_lo, exec_lo, s1
	s_wait_alu 0xfffe
	s_cbranch_vccnz .LBB39_3
; %bb.5:                                ;   in Loop: Header=BB39_4 Depth=1
	s_load_b32 s34, s[22:23], 0x8
	v_dual_mov_b32 v6, v4 :: v_dual_mov_b32 v5, v3
	s_mul_u64 s[36:37], s[18:19], s[12:13]
	s_mov_b32 s35, s21
	s_mul_u64 s[36:37], s[36:37], 18
	s_mov_b64 s[40:41], s[26:27]
	s_wait_kmcnt 0x0
	s_mul_u64 s[38:39], s[4:5], s[34:35]
.LBB39_6:                               ;   Parent Loop BB39_4 Depth=1
                                        ; =>  This Inner Loop Header: Depth=2
	s_wait_alu 0xfffe
	s_mov_b32 s20, s40
	s_mov_b32 s43, s21
	s_wait_alu 0xfffe
	s_mul_u64 s[44:45], s[28:29], s[20:21]
	s_delay_alu instid0(SALU_CYCLE_1)
	s_add_co_i32 s0, s40, s45
	s_wait_alu 0xfffe
	s_lshr_b32 s42, s0, s17
	s_wait_alu 0xfffe
	s_mul_i32 s0, s16, s42
	s_mul_u64 s[42:43], s[24:25], s[42:43]
	s_wait_alu 0xfffe
	s_add_co_i32 s20, s40, s0
	s_mul_u64 s[42:43], s[42:43], 18
	s_wait_alu 0xfffe
	s_mul_u64 s[44:45], s[14:15], s[20:21]
	s_add_nc_u64 s[42:43], s[8:9], s[42:43]
	s_mul_u64 s[44:45], s[44:45], 18
	s_add_nc_u64 s[40:41], s[40:41], s[34:35]
	s_wait_alu 0xfffe
	s_add_nc_u64 s[42:43], s[42:43], s[44:45]
	v_cmp_ge_i64_e64 s0, s[40:41], s[2:3]
	s_wait_alu 0xfffe
	s_add_nc_u64 s[42:43], s[42:43], s[36:37]
	s_wait_alu 0xfffe
	v_mad_co_u64_u32 v[9:10], null, v1, 18, s[42:43]
	s_delay_alu instid0(VALU_DEP_1) | instskip(NEXT) | instid1(VALU_DEP_2)
	v_mad_co_u64_u32 v[10:11], null, v2, 18, v[10:11]
	v_add_co_u32 v11, vcc_lo, v9, v0
	s_wait_alu 0xfffd
	s_delay_alu instid0(VALU_DEP_2)
	v_add_co_ci_u32_e64 v12, null, 0, v10, vcc_lo
	s_and_b32 vcc_lo, exec_lo, s0
	s_clause 0x1
	global_load_u8 v11, v[11:12], off offset:2
	global_load_u16 v9, v[9:10], off
	s_wait_loadcnt 0x1
	v_lshrrev_b32_e32 v10, v7, v11
	v_lshrrev_b32_e32 v11, v8, v11
	s_delay_alu instid0(VALU_DEP_2) | instskip(NEXT) | instid1(VALU_DEP_2)
	v_lshlrev_b32_e32 v10, 1, v10
	v_lshlrev_b32_e32 v11, 1, v11
	s_delay_alu instid0(VALU_DEP_2) | instskip(NEXT) | instid1(VALU_DEP_2)
	v_and_b32_e32 v10, 2, v10
	v_and_b32_e32 v11, 2, v11
	s_delay_alu instid0(VALU_DEP_2) | instskip(NEXT) | instid1(VALU_DEP_2)
	v_add_nc_u32_e32 v10, -1, v10
	v_add_nc_u32_e32 v11, -1, v11
	s_delay_alu instid0(VALU_DEP_2) | instskip(NEXT) | instid1(VALU_DEP_2)
	v_cvt_f32_i32_e32 v10, v10
	v_cvt_f32_i32_e32 v11, v11
	s_wait_loadcnt 0x0
	s_delay_alu instid0(VALU_DEP_2) | instskip(NEXT) | instid1(VALU_DEP_1)
	v_fma_mixlo_f16 v10, v9, v10, 0 op_sel_hi:[1,0,0]
	v_fma_mixhi_f16 v10, v9, v11, 0 op_sel_hi:[1,0,0]
	global_store_b32 v[5:6], v10, off offset:-2
	v_add_co_u32 v5, s0, v5, s38
	s_wait_alu 0xf1ff
	v_add_co_ci_u32_e64 v6, null, s39, v6, s0
	s_wait_alu 0xfffe
	s_cbranch_vccz .LBB39_6
	s_branch .LBB39_3
.LBB39_7:
	s_endpgm
	.section	.rodata,"a",@progbits
	.p2align	6, 0x0
	.amdhsa_kernel _ZL16dequantize_blockILi128ELi1EXadL_ZL15dequantize_q1_0PKvliR15HIP_vector_typeIfLj2EEEE6__halfEvS1_PT2_lllS2_IjLj3EElll
		.amdhsa_group_segment_fixed_size 0
		.amdhsa_private_segment_fixed_size 0
		.amdhsa_kernarg_size 336
		.amdhsa_user_sgpr_count 2
		.amdhsa_user_sgpr_dispatch_ptr 0
		.amdhsa_user_sgpr_queue_ptr 0
		.amdhsa_user_sgpr_kernarg_segment_ptr 1
		.amdhsa_user_sgpr_dispatch_id 0
		.amdhsa_user_sgpr_private_segment_size 0
		.amdhsa_wavefront_size32 1
		.amdhsa_uses_dynamic_stack 0
		.amdhsa_enable_private_segment 0
		.amdhsa_system_sgpr_workgroup_id_x 1
		.amdhsa_system_sgpr_workgroup_id_y 1
		.amdhsa_system_sgpr_workgroup_id_z 1
		.amdhsa_system_sgpr_workgroup_info 0
		.amdhsa_system_vgpr_workitem_id 0
		.amdhsa_next_free_vgpr 13
		.amdhsa_next_free_sgpr 46
		.amdhsa_reserve_vcc 1
		.amdhsa_float_round_mode_32 0
		.amdhsa_float_round_mode_16_64 0
		.amdhsa_float_denorm_mode_32 3
		.amdhsa_float_denorm_mode_16_64 3
		.amdhsa_fp16_overflow 0
		.amdhsa_workgroup_processor_mode 1
		.amdhsa_memory_ordered 1
		.amdhsa_forward_progress 1
		.amdhsa_inst_pref_size 7
		.amdhsa_round_robin_scheduling 0
		.amdhsa_exception_fp_ieee_invalid_op 0
		.amdhsa_exception_fp_denorm_src 0
		.amdhsa_exception_fp_ieee_div_zero 0
		.amdhsa_exception_fp_ieee_overflow 0
		.amdhsa_exception_fp_ieee_underflow 0
		.amdhsa_exception_fp_ieee_inexact 0
		.amdhsa_exception_int_div_zero 0
	.end_amdhsa_kernel
	.section	.text._ZL16dequantize_blockILi128ELi1EXadL_ZL15dequantize_q1_0PKvliR15HIP_vector_typeIfLj2EEEE6__halfEvS1_PT2_lllS2_IjLj3EElll,"axG",@progbits,_ZL16dequantize_blockILi128ELi1EXadL_ZL15dequantize_q1_0PKvliR15HIP_vector_typeIfLj2EEEE6__halfEvS1_PT2_lllS2_IjLj3EElll,comdat
.Lfunc_end39:
	.size	_ZL16dequantize_blockILi128ELi1EXadL_ZL15dequantize_q1_0PKvliR15HIP_vector_typeIfLj2EEEE6__halfEvS1_PT2_lllS2_IjLj3EElll, .Lfunc_end39-_ZL16dequantize_blockILi128ELi1EXadL_ZL15dequantize_q1_0PKvliR15HIP_vector_typeIfLj2EEEE6__halfEvS1_PT2_lllS2_IjLj3EElll
                                        ; -- End function
	.set _ZL16dequantize_blockILi128ELi1EXadL_ZL15dequantize_q1_0PKvliR15HIP_vector_typeIfLj2EEEE6__halfEvS1_PT2_lllS2_IjLj3EElll.num_vgpr, 13
	.set _ZL16dequantize_blockILi128ELi1EXadL_ZL15dequantize_q1_0PKvliR15HIP_vector_typeIfLj2EEEE6__halfEvS1_PT2_lllS2_IjLj3EElll.num_agpr, 0
	.set _ZL16dequantize_blockILi128ELi1EXadL_ZL15dequantize_q1_0PKvliR15HIP_vector_typeIfLj2EEEE6__halfEvS1_PT2_lllS2_IjLj3EElll.numbered_sgpr, 46
	.set _ZL16dequantize_blockILi128ELi1EXadL_ZL15dequantize_q1_0PKvliR15HIP_vector_typeIfLj2EEEE6__halfEvS1_PT2_lllS2_IjLj3EElll.num_named_barrier, 0
	.set _ZL16dequantize_blockILi128ELi1EXadL_ZL15dequantize_q1_0PKvliR15HIP_vector_typeIfLj2EEEE6__halfEvS1_PT2_lllS2_IjLj3EElll.private_seg_size, 0
	.set _ZL16dequantize_blockILi128ELi1EXadL_ZL15dequantize_q1_0PKvliR15HIP_vector_typeIfLj2EEEE6__halfEvS1_PT2_lllS2_IjLj3EElll.uses_vcc, 1
	.set _ZL16dequantize_blockILi128ELi1EXadL_ZL15dequantize_q1_0PKvliR15HIP_vector_typeIfLj2EEEE6__halfEvS1_PT2_lllS2_IjLj3EElll.uses_flat_scratch, 0
	.set _ZL16dequantize_blockILi128ELi1EXadL_ZL15dequantize_q1_0PKvliR15HIP_vector_typeIfLj2EEEE6__halfEvS1_PT2_lllS2_IjLj3EElll.has_dyn_sized_stack, 0
	.set _ZL16dequantize_blockILi128ELi1EXadL_ZL15dequantize_q1_0PKvliR15HIP_vector_typeIfLj2EEEE6__halfEvS1_PT2_lllS2_IjLj3EElll.has_recursion, 0
	.set _ZL16dequantize_blockILi128ELi1EXadL_ZL15dequantize_q1_0PKvliR15HIP_vector_typeIfLj2EEEE6__halfEvS1_PT2_lllS2_IjLj3EElll.has_indirect_call, 0
	.section	.AMDGPU.csdata,"",@progbits
; Kernel info:
; codeLenInByte = 808
; TotalNumSgprs: 48
; NumVgprs: 13
; ScratchSize: 0
; MemoryBound: 0
; FloatMode: 240
; IeeeMode: 1
; LDSByteSize: 0 bytes/workgroup (compile time only)
; SGPRBlocks: 0
; VGPRBlocks: 1
; NumSGPRsForWavesPerEU: 48
; NumVGPRsForWavesPerEU: 13
; Occupancy: 16
; WaveLimiterHint : 0
; COMPUTE_PGM_RSRC2:SCRATCH_EN: 0
; COMPUTE_PGM_RSRC2:USER_SGPR: 2
; COMPUTE_PGM_RSRC2:TRAP_HANDLER: 0
; COMPUTE_PGM_RSRC2:TGID_X_EN: 1
; COMPUTE_PGM_RSRC2:TGID_Y_EN: 1
; COMPUTE_PGM_RSRC2:TGID_Z_EN: 1
; COMPUTE_PGM_RSRC2:TIDIG_COMP_CNT: 0
	.section	.text._ZL16dequantize_blockILi32ELi2EXadL_ZL15dequantize_q4_0PKvliR15HIP_vector_typeIfLj2EEEE6__halfEvS1_PT2_lllS2_IjLj3EElll,"axG",@progbits,_ZL16dequantize_blockILi32ELi2EXadL_ZL15dequantize_q4_0PKvliR15HIP_vector_typeIfLj2EEEE6__halfEvS1_PT2_lllS2_IjLj3EElll,comdat
	.globl	_ZL16dequantize_blockILi32ELi2EXadL_ZL15dequantize_q4_0PKvliR15HIP_vector_typeIfLj2EEEE6__halfEvS1_PT2_lllS2_IjLj3EElll ; -- Begin function _ZL16dequantize_blockILi32ELi2EXadL_ZL15dequantize_q4_0PKvliR15HIP_vector_typeIfLj2EEEE6__halfEvS1_PT2_lllS2_IjLj3EElll
	.p2align	8
	.type	_ZL16dequantize_blockILi32ELi2EXadL_ZL15dequantize_q4_0PKvliR15HIP_vector_typeIfLj2EEEE6__halfEvS1_PT2_lllS2_IjLj3EElll,@function
_ZL16dequantize_blockILi32ELi2EXadL_ZL15dequantize_q4_0PKvliR15HIP_vector_typeIfLj2EEEE6__halfEvS1_PT2_lllS2_IjLj3EElll: ; @_ZL16dequantize_blockILi32ELi2EXadL_ZL15dequantize_q4_0PKvliR15HIP_vector_typeIfLj2EEEE6__halfEvS1_PT2_lllS2_IjLj3EElll
; %bb.0:
	s_clause 0x1
	s_load_b32 s2, s[0:1], 0x5c
	s_load_b128 s[4:7], s[0:1], 0x10
	v_mov_b32_e32 v1, 0
	s_wait_kmcnt 0x0
	s_and_b32 s2, s2, 0xffff
	s_delay_alu instid0(VALU_DEP_1) | instid1(SALU_CYCLE_1)
	v_mad_co_u64_u32 v[2:3], null, s2, ttmp9, v[0:1]
	s_mov_b32 s2, exec_lo
	v_lshlrev_b64_e32 v[0:1], 1, v[2:3]
	s_delay_alu instid0(VALU_DEP_1)
	v_cmpx_gt_i64_e64 s[4:5], v[0:1]
	s_cbranch_execz .LBB40_7
; %bb.1:
	s_load_b64 s[2:3], s[0:1], 0x20
	s_mov_b32 s21, 0
	s_and_b32 s20, ttmp7, 0xffff
	s_delay_alu instid0(SALU_CYCLE_1)
	v_cmp_le_i64_e64 s8, s[6:7], s[20:21]
	s_and_b32 vcc_lo, exec_lo, s8
	s_cbranch_vccnz .LBB40_7
; %bb.2:
	v_lshrrev_b64 v[0:1], 4, v[2:3]
	s_clause 0x1
	s_load_b96 s[16:18], s[0:1], 0x28
	s_load_b128 s[8:11], s[0:1], 0x0
	s_lshr_b32 s24, ttmp7, 16
	s_mov_b32 s25, s21
	s_add_nc_u64 s[22:23], s[0:1], 0x50
	s_mul_u64 s[12:13], s[6:7], s[24:25]
	v_and_b32_e32 v6, 15, v2
	s_load_b32 s26, s[22:23], 0x4
	s_add_nc_u64 s[30:31], s[12:13], s[20:21]
	v_lshlrev_b64_e32 v[2:3], 6, v[0:1]
	s_clause 0x1
	s_load_b128 s[12:15], s[0:1], 0x38
	s_load_b64 s[28:29], s[0:1], 0x48
	s_mul_u64 s[0:1], s[4:5], s[30:31]
	v_lshlrev_b32_e32 v4, 1, v6
	s_wait_alu 0xfffe
	s_lshl_b64 s[0:1], s[0:1], 1
	s_mov_b32 s27, s21
	s_wait_alu 0xfffe
	v_add_co_u32 v2, vcc_lo, s0, v2
	s_delay_alu instid0(VALU_DEP_1)
	v_add_co_ci_u32_e64 v3, null, s1, v3, vcc_lo
	s_mov_b32 s31, s21
	v_add_co_u32 v2, vcc_lo, v2, v4
	s_wait_alu 0xfffd
	v_add_co_ci_u32_e64 v3, null, 0, v3, vcc_lo
	s_wait_kmcnt 0x0
	s_mov_b32 s30, s16
	v_add_co_u32 v2, vcc_lo, s10, v2
	s_wait_alu 0xfffd
	v_add_co_ci_u32_e64 v3, null, s11, v3, vcc_lo
	s_mul_u64 s[0:1], s[4:5], s[26:27]
	v_add_co_u32 v2, vcc_lo, v2, 32
	s_wait_alu 0xfffe
	s_lshl_b64 s[10:11], s[0:1], 1
	v_cmp_gt_i64_e64 s1, s[2:3], s[24:25]
	s_wait_alu 0xfffd
	v_add_co_ci_u32_e64 v3, null, 0, v3, vcc_lo
	s_mul_u64 s[4:5], s[6:7], s[4:5]
	s_sub_co_i32 s16, 0, s18
	s_wait_alu 0xfffe
	s_lshl_b64 s[4:5], s[4:5], 1
	s_mov_b64 s[18:19], s[20:21]
	s_branch .LBB40_4
.LBB40_3:                               ;   in Loop: Header=BB40_4 Depth=1
	s_add_nc_u64 s[18:19], s[18:19], s[26:27]
	v_add_co_u32 v2, vcc_lo, v2, s10
	s_wait_alu 0xfffe
	v_cmp_ge_i64_e64 s0, s[18:19], s[6:7]
	s_wait_alu 0xfffd
	v_add_co_ci_u32_e64 v3, null, s11, v3, vcc_lo
	s_and_b32 vcc_lo, exec_lo, s0
	s_wait_alu 0xfffe
	s_cbranch_vccnz .LBB40_7
.LBB40_4:                               ; =>This Loop Header: Depth=1
                                        ;     Child Loop BB40_6 Depth 2
	s_and_not1_b32 vcc_lo, exec_lo, s1
	s_wait_alu 0xfffe
	s_cbranch_vccnz .LBB40_3
; %bb.5:                                ;   in Loop: Header=BB40_4 Depth=1
	s_load_b32 s34, s[22:23], 0x8
	v_dual_mov_b32 v5, v3 :: v_dual_mov_b32 v4, v2
	s_mul_u64 s[36:37], s[18:19], s[12:13]
	s_mov_b32 s35, s21
	s_mul_u64 s[36:37], s[36:37], 18
	s_mov_b64 s[40:41], s[24:25]
	s_wait_kmcnt 0x0
	s_mul_u64 s[38:39], s[4:5], s[34:35]
.LBB40_6:                               ;   Parent Loop BB40_4 Depth=1
                                        ; =>  This Inner Loop Header: Depth=2
	s_wait_alu 0xfffe
	s_mov_b32 s20, s40
	s_mov_b32 s43, s21
	s_wait_alu 0xfffe
	s_mul_u64 s[44:45], s[30:31], s[20:21]
	s_delay_alu instid0(SALU_CYCLE_1)
	s_add_co_i32 s0, s40, s45
	s_wait_alu 0xfffe
	s_lshr_b32 s42, s0, s17
	s_wait_alu 0xfffe
	s_mul_i32 s0, s16, s42
	s_mul_u64 s[42:43], s[28:29], s[42:43]
	s_wait_alu 0xfffe
	s_add_co_i32 s20, s40, s0
	s_mul_u64 s[42:43], s[42:43], 18
	s_wait_alu 0xfffe
	s_mul_u64 s[44:45], s[14:15], s[20:21]
	s_add_nc_u64 s[42:43], s[8:9], s[42:43]
	s_mul_u64 s[44:45], s[44:45], 18
	s_add_nc_u64 s[40:41], s[40:41], s[34:35]
	s_wait_alu 0xfffe
	s_add_nc_u64 s[42:43], s[42:43], s[44:45]
	v_cmp_ge_i64_e64 s0, s[40:41], s[2:3]
	s_wait_alu 0xfffe
	s_add_nc_u64 s[42:43], s[42:43], s[36:37]
	s_wait_alu 0xfffe
	v_mad_co_u64_u32 v[7:8], null, v0, 18, s[42:43]
	s_delay_alu instid0(VALU_DEP_1) | instskip(NEXT) | instid1(VALU_DEP_2)
	v_mad_co_u64_u32 v[8:9], null, v1, 18, v[8:9]
	v_add_co_u32 v9, vcc_lo, v7, v6
	s_wait_alu 0xfffd
	s_delay_alu instid0(VALU_DEP_2)
	v_add_co_ci_u32_e64 v10, null, 0, v8, vcc_lo
	s_and_b32 vcc_lo, exec_lo, s0
	s_clause 0x1
	global_load_u8 v9, v[9:10], off offset:2
	global_load_u16 v7, v[7:8], off
	s_wait_loadcnt 0x1
	v_and_b32_e32 v8, 15, v9
	v_lshrrev_b32_e32 v9, 4, v9
	s_delay_alu instid0(VALU_DEP_2) | instskip(NEXT) | instid1(VALU_DEP_2)
	v_add_nc_u32_e32 v8, -8, v8
	v_add_nc_u32_e32 v9, -8, v9
	s_delay_alu instid0(VALU_DEP_2) | instskip(NEXT) | instid1(VALU_DEP_2)
	v_cvt_f32_i32_e32 v8, v8
	v_cvt_f32_i32_e32 v9, v9
	s_wait_loadcnt 0x0
	s_delay_alu instid0(VALU_DEP_2) | instskip(NEXT) | instid1(VALU_DEP_2)
	v_fma_mixlo_f16 v8, v7, v8, 0 op_sel_hi:[1,0,0]
	v_fma_mixlo_f16 v7, v7, v9, 0 op_sel_hi:[1,0,0]
	s_clause 0x1
	global_store_b16 v[4:5], v8, off offset:-32
	global_store_b16 v[4:5], v7, off
	v_add_co_u32 v4, s0, v4, s38
	s_wait_alu 0xf1ff
	v_add_co_ci_u32_e64 v5, null, s39, v5, s0
	s_wait_alu 0xfffe
	s_cbranch_vccz .LBB40_6
	s_branch .LBB40_3
.LBB40_7:
	s_endpgm
	.section	.rodata,"a",@progbits
	.p2align	6, 0x0
	.amdhsa_kernel _ZL16dequantize_blockILi32ELi2EXadL_ZL15dequantize_q4_0PKvliR15HIP_vector_typeIfLj2EEEE6__halfEvS1_PT2_lllS2_IjLj3EElll
		.amdhsa_group_segment_fixed_size 0
		.amdhsa_private_segment_fixed_size 0
		.amdhsa_kernarg_size 336
		.amdhsa_user_sgpr_count 2
		.amdhsa_user_sgpr_dispatch_ptr 0
		.amdhsa_user_sgpr_queue_ptr 0
		.amdhsa_user_sgpr_kernarg_segment_ptr 1
		.amdhsa_user_sgpr_dispatch_id 0
		.amdhsa_user_sgpr_private_segment_size 0
		.amdhsa_wavefront_size32 1
		.amdhsa_uses_dynamic_stack 0
		.amdhsa_enable_private_segment 0
		.amdhsa_system_sgpr_workgroup_id_x 1
		.amdhsa_system_sgpr_workgroup_id_y 1
		.amdhsa_system_sgpr_workgroup_id_z 1
		.amdhsa_system_sgpr_workgroup_info 0
		.amdhsa_system_vgpr_workitem_id 0
		.amdhsa_next_free_vgpr 11
		.amdhsa_next_free_sgpr 46
		.amdhsa_reserve_vcc 1
		.amdhsa_float_round_mode_32 0
		.amdhsa_float_round_mode_16_64 0
		.amdhsa_float_denorm_mode_32 3
		.amdhsa_float_denorm_mode_16_64 3
		.amdhsa_fp16_overflow 0
		.amdhsa_workgroup_processor_mode 1
		.amdhsa_memory_ordered 1
		.amdhsa_forward_progress 1
		.amdhsa_inst_pref_size 6
		.amdhsa_round_robin_scheduling 0
		.amdhsa_exception_fp_ieee_invalid_op 0
		.amdhsa_exception_fp_denorm_src 0
		.amdhsa_exception_fp_ieee_div_zero 0
		.amdhsa_exception_fp_ieee_overflow 0
		.amdhsa_exception_fp_ieee_underflow 0
		.amdhsa_exception_fp_ieee_inexact 0
		.amdhsa_exception_int_div_zero 0
	.end_amdhsa_kernel
	.section	.text._ZL16dequantize_blockILi32ELi2EXadL_ZL15dequantize_q4_0PKvliR15HIP_vector_typeIfLj2EEEE6__halfEvS1_PT2_lllS2_IjLj3EElll,"axG",@progbits,_ZL16dequantize_blockILi32ELi2EXadL_ZL15dequantize_q4_0PKvliR15HIP_vector_typeIfLj2EEEE6__halfEvS1_PT2_lllS2_IjLj3EElll,comdat
.Lfunc_end40:
	.size	_ZL16dequantize_blockILi32ELi2EXadL_ZL15dequantize_q4_0PKvliR15HIP_vector_typeIfLj2EEEE6__halfEvS1_PT2_lllS2_IjLj3EElll, .Lfunc_end40-_ZL16dequantize_blockILi32ELi2EXadL_ZL15dequantize_q4_0PKvliR15HIP_vector_typeIfLj2EEEE6__halfEvS1_PT2_lllS2_IjLj3EElll
                                        ; -- End function
	.set _ZL16dequantize_blockILi32ELi2EXadL_ZL15dequantize_q4_0PKvliR15HIP_vector_typeIfLj2EEEE6__halfEvS1_PT2_lllS2_IjLj3EElll.num_vgpr, 11
	.set _ZL16dequantize_blockILi32ELi2EXadL_ZL15dequantize_q4_0PKvliR15HIP_vector_typeIfLj2EEEE6__halfEvS1_PT2_lllS2_IjLj3EElll.num_agpr, 0
	.set _ZL16dequantize_blockILi32ELi2EXadL_ZL15dequantize_q4_0PKvliR15HIP_vector_typeIfLj2EEEE6__halfEvS1_PT2_lllS2_IjLj3EElll.numbered_sgpr, 46
	.set _ZL16dequantize_blockILi32ELi2EXadL_ZL15dequantize_q4_0PKvliR15HIP_vector_typeIfLj2EEEE6__halfEvS1_PT2_lllS2_IjLj3EElll.num_named_barrier, 0
	.set _ZL16dequantize_blockILi32ELi2EXadL_ZL15dequantize_q4_0PKvliR15HIP_vector_typeIfLj2EEEE6__halfEvS1_PT2_lllS2_IjLj3EElll.private_seg_size, 0
	.set _ZL16dequantize_blockILi32ELi2EXadL_ZL15dequantize_q4_0PKvliR15HIP_vector_typeIfLj2EEEE6__halfEvS1_PT2_lllS2_IjLj3EElll.uses_vcc, 1
	.set _ZL16dequantize_blockILi32ELi2EXadL_ZL15dequantize_q4_0PKvliR15HIP_vector_typeIfLj2EEEE6__halfEvS1_PT2_lllS2_IjLj3EElll.uses_flat_scratch, 0
	.set _ZL16dequantize_blockILi32ELi2EXadL_ZL15dequantize_q4_0PKvliR15HIP_vector_typeIfLj2EEEE6__halfEvS1_PT2_lllS2_IjLj3EElll.has_dyn_sized_stack, 0
	.set _ZL16dequantize_blockILi32ELi2EXadL_ZL15dequantize_q4_0PKvliR15HIP_vector_typeIfLj2EEEE6__halfEvS1_PT2_lllS2_IjLj3EElll.has_recursion, 0
	.set _ZL16dequantize_blockILi32ELi2EXadL_ZL15dequantize_q4_0PKvliR15HIP_vector_typeIfLj2EEEE6__halfEvS1_PT2_lllS2_IjLj3EElll.has_indirect_call, 0
	.section	.AMDGPU.csdata,"",@progbits
; Kernel info:
; codeLenInByte = 768
; TotalNumSgprs: 48
; NumVgprs: 11
; ScratchSize: 0
; MemoryBound: 0
; FloatMode: 240
; IeeeMode: 1
; LDSByteSize: 0 bytes/workgroup (compile time only)
; SGPRBlocks: 0
; VGPRBlocks: 1
; NumSGPRsForWavesPerEU: 48
; NumVGPRsForWavesPerEU: 11
; Occupancy: 16
; WaveLimiterHint : 0
; COMPUTE_PGM_RSRC2:SCRATCH_EN: 0
; COMPUTE_PGM_RSRC2:USER_SGPR: 2
; COMPUTE_PGM_RSRC2:TRAP_HANDLER: 0
; COMPUTE_PGM_RSRC2:TGID_X_EN: 1
; COMPUTE_PGM_RSRC2:TGID_Y_EN: 1
; COMPUTE_PGM_RSRC2:TGID_Z_EN: 1
; COMPUTE_PGM_RSRC2:TIDIG_COMP_CNT: 0
	.section	.text._ZL16dequantize_blockILi32ELi2EXadL_ZL15dequantize_q4_1PKvliR15HIP_vector_typeIfLj2EEEE6__halfEvS1_PT2_lllS2_IjLj3EElll,"axG",@progbits,_ZL16dequantize_blockILi32ELi2EXadL_ZL15dequantize_q4_1PKvliR15HIP_vector_typeIfLj2EEEE6__halfEvS1_PT2_lllS2_IjLj3EElll,comdat
	.globl	_ZL16dequantize_blockILi32ELi2EXadL_ZL15dequantize_q4_1PKvliR15HIP_vector_typeIfLj2EEEE6__halfEvS1_PT2_lllS2_IjLj3EElll ; -- Begin function _ZL16dequantize_blockILi32ELi2EXadL_ZL15dequantize_q4_1PKvliR15HIP_vector_typeIfLj2EEEE6__halfEvS1_PT2_lllS2_IjLj3EElll
	.p2align	8
	.type	_ZL16dequantize_blockILi32ELi2EXadL_ZL15dequantize_q4_1PKvliR15HIP_vector_typeIfLj2EEEE6__halfEvS1_PT2_lllS2_IjLj3EElll,@function
_ZL16dequantize_blockILi32ELi2EXadL_ZL15dequantize_q4_1PKvliR15HIP_vector_typeIfLj2EEEE6__halfEvS1_PT2_lllS2_IjLj3EElll: ; @_ZL16dequantize_blockILi32ELi2EXadL_ZL15dequantize_q4_1PKvliR15HIP_vector_typeIfLj2EEEE6__halfEvS1_PT2_lllS2_IjLj3EElll
; %bb.0:
	s_clause 0x1
	s_load_b32 s2, s[0:1], 0x5c
	s_load_b128 s[4:7], s[0:1], 0x10
	v_mov_b32_e32 v1, 0
	s_wait_kmcnt 0x0
	s_and_b32 s2, s2, 0xffff
	s_delay_alu instid0(VALU_DEP_1) | instid1(SALU_CYCLE_1)
	v_mad_co_u64_u32 v[2:3], null, s2, ttmp9, v[0:1]
	s_mov_b32 s2, exec_lo
	v_lshlrev_b64_e32 v[0:1], 1, v[2:3]
	s_delay_alu instid0(VALU_DEP_1)
	v_cmpx_gt_i64_e64 s[4:5], v[0:1]
	s_cbranch_execz .LBB41_7
; %bb.1:
	s_load_b64 s[2:3], s[0:1], 0x20
	s_mov_b32 s21, 0
	s_and_b32 s20, ttmp7, 0xffff
	s_delay_alu instid0(SALU_CYCLE_1)
	v_cmp_le_i64_e64 s8, s[6:7], s[20:21]
	s_and_b32 vcc_lo, exec_lo, s8
	s_cbranch_vccnz .LBB41_7
; %bb.2:
	v_lshrrev_b64 v[0:1], 4, v[2:3]
	s_clause 0x1
	s_load_b96 s[16:18], s[0:1], 0x28
	s_load_b128 s[8:11], s[0:1], 0x0
	s_lshr_b32 s24, ttmp7, 16
	s_mov_b32 s25, s21
	s_add_nc_u64 s[22:23], s[0:1], 0x50
	s_mul_u64 s[12:13], s[6:7], s[24:25]
	v_and_b32_e32 v6, 15, v2
	s_load_b32 s26, s[22:23], 0x4
	s_add_nc_u64 s[30:31], s[12:13], s[20:21]
	v_lshlrev_b64_e32 v[2:3], 6, v[0:1]
	s_clause 0x1
	s_load_b128 s[12:15], s[0:1], 0x38
	s_load_b64 s[28:29], s[0:1], 0x48
	s_mul_u64 s[0:1], s[4:5], s[30:31]
	v_lshlrev_b32_e32 v4, 1, v6
	s_wait_alu 0xfffe
	s_lshl_b64 s[0:1], s[0:1], 1
	s_mov_b32 s27, s21
	s_wait_alu 0xfffe
	v_add_co_u32 v2, vcc_lo, s0, v2
	s_delay_alu instid0(VALU_DEP_1)
	v_add_co_ci_u32_e64 v3, null, s1, v3, vcc_lo
	s_mov_b32 s31, s21
	v_add_co_u32 v2, vcc_lo, v2, v4
	s_wait_alu 0xfffd
	v_add_co_ci_u32_e64 v3, null, 0, v3, vcc_lo
	s_wait_kmcnt 0x0
	s_mov_b32 s30, s16
	v_add_co_u32 v2, vcc_lo, s10, v2
	s_wait_alu 0xfffd
	v_add_co_ci_u32_e64 v3, null, s11, v3, vcc_lo
	s_mul_u64 s[0:1], s[4:5], s[26:27]
	v_add_co_u32 v2, vcc_lo, v2, 32
	s_wait_alu 0xfffe
	s_lshl_b64 s[10:11], s[0:1], 1
	v_cmp_gt_i64_e64 s1, s[2:3], s[24:25]
	s_wait_alu 0xfffd
	v_add_co_ci_u32_e64 v3, null, 0, v3, vcc_lo
	s_mul_u64 s[4:5], s[6:7], s[4:5]
	s_sub_co_i32 s16, 0, s18
	s_wait_alu 0xfffe
	s_lshl_b64 s[4:5], s[4:5], 1
	s_mov_b64 s[18:19], s[20:21]
	s_branch .LBB41_4
.LBB41_3:                               ;   in Loop: Header=BB41_4 Depth=1
	s_add_nc_u64 s[18:19], s[18:19], s[26:27]
	v_add_co_u32 v2, vcc_lo, v2, s10
	s_wait_alu 0xfffe
	v_cmp_ge_i64_e64 s0, s[18:19], s[6:7]
	s_wait_alu 0xfffd
	v_add_co_ci_u32_e64 v3, null, s11, v3, vcc_lo
	s_and_b32 vcc_lo, exec_lo, s0
	s_wait_alu 0xfffe
	s_cbranch_vccnz .LBB41_7
.LBB41_4:                               ; =>This Loop Header: Depth=1
                                        ;     Child Loop BB41_6 Depth 2
	s_and_not1_b32 vcc_lo, exec_lo, s1
	s_wait_alu 0xfffe
	s_cbranch_vccnz .LBB41_3
; %bb.5:                                ;   in Loop: Header=BB41_4 Depth=1
	s_load_b32 s34, s[22:23], 0x8
	v_dual_mov_b32 v5, v3 :: v_dual_mov_b32 v4, v2
	s_mul_u64 s[36:37], s[18:19], s[12:13]
	s_mov_b32 s35, s21
	s_mul_u64 s[36:37], s[36:37], 20
	s_mov_b64 s[40:41], s[24:25]
	s_wait_kmcnt 0x0
	s_mul_u64 s[38:39], s[4:5], s[34:35]
.LBB41_6:                               ;   Parent Loop BB41_4 Depth=1
                                        ; =>  This Inner Loop Header: Depth=2
	s_wait_alu 0xfffe
	s_mov_b32 s20, s40
	s_mov_b32 s43, s21
	s_wait_alu 0xfffe
	s_mul_u64 s[44:45], s[30:31], s[20:21]
	s_delay_alu instid0(SALU_CYCLE_1)
	s_add_co_i32 s0, s40, s45
	s_wait_alu 0xfffe
	s_lshr_b32 s42, s0, s17
	s_wait_alu 0xfffe
	s_mul_i32 s0, s16, s42
	s_mul_u64 s[42:43], s[28:29], s[42:43]
	s_wait_alu 0xfffe
	s_add_co_i32 s20, s40, s0
	s_mul_u64 s[42:43], s[42:43], 20
	s_wait_alu 0xfffe
	s_mul_u64 s[44:45], s[14:15], s[20:21]
	s_add_nc_u64 s[42:43], s[8:9], s[42:43]
	s_mul_u64 s[44:45], s[44:45], 20
	s_add_nc_u64 s[40:41], s[40:41], s[34:35]
	s_wait_alu 0xfffe
	s_add_nc_u64 s[42:43], s[42:43], s[44:45]
	v_cmp_ge_i64_e64 s0, s[40:41], s[2:3]
	s_wait_alu 0xfffe
	s_add_nc_u64 s[42:43], s[42:43], s[36:37]
	s_wait_alu 0xfffe
	v_mad_co_u64_u32 v[7:8], null, v0, 20, s[42:43]
	s_delay_alu instid0(VALU_DEP_1) | instskip(NEXT) | instid1(VALU_DEP_2)
	v_mad_co_u64_u32 v[8:9], null, v1, 20, v[8:9]
	v_add_co_u32 v9, vcc_lo, v7, v6
	s_wait_alu 0xfffd
	s_delay_alu instid0(VALU_DEP_2)
	v_add_co_ci_u32_e64 v10, null, 0, v8, vcc_lo
	s_and_b32 vcc_lo, exec_lo, s0
	s_clause 0x1
	global_load_u8 v9, v[9:10], off offset:4
	global_load_b32 v7, v[7:8], off
	s_wait_loadcnt 0x1
	v_and_b32_e32 v8, 15, v9
	v_lshrrev_b32_e32 v9, 4, v9
	s_delay_alu instid0(VALU_DEP_2) | instskip(NEXT) | instid1(VALU_DEP_2)
	v_cvt_f32_ubyte0_e32 v8, v8
	v_cvt_f32_ubyte0_e32 v9, v9
	s_wait_loadcnt 0x0
	s_delay_alu instid0(VALU_DEP_2) | instskip(NEXT) | instid1(VALU_DEP_2)
	v_fma_mixlo_f16 v8, v7, v8, v7 op_sel:[0,0,1] op_sel_hi:[1,0,1]
	v_fma_mixlo_f16 v7, v7, v9, v7 op_sel:[0,0,1] op_sel_hi:[1,0,1]
	s_clause 0x1
	global_store_b16 v[4:5], v8, off offset:-32
	global_store_b16 v[4:5], v7, off
	v_add_co_u32 v4, s0, v4, s38
	s_wait_alu 0xf1ff
	v_add_co_ci_u32_e64 v5, null, s39, v5, s0
	s_wait_alu 0xfffe
	s_cbranch_vccz .LBB41_6
	s_branch .LBB41_3
.LBB41_7:
	s_endpgm
	.section	.rodata,"a",@progbits
	.p2align	6, 0x0
	.amdhsa_kernel _ZL16dequantize_blockILi32ELi2EXadL_ZL15dequantize_q4_1PKvliR15HIP_vector_typeIfLj2EEEE6__halfEvS1_PT2_lllS2_IjLj3EElll
		.amdhsa_group_segment_fixed_size 0
		.amdhsa_private_segment_fixed_size 0
		.amdhsa_kernarg_size 336
		.amdhsa_user_sgpr_count 2
		.amdhsa_user_sgpr_dispatch_ptr 0
		.amdhsa_user_sgpr_queue_ptr 0
		.amdhsa_user_sgpr_kernarg_segment_ptr 1
		.amdhsa_user_sgpr_dispatch_id 0
		.amdhsa_user_sgpr_private_segment_size 0
		.amdhsa_wavefront_size32 1
		.amdhsa_uses_dynamic_stack 0
		.amdhsa_enable_private_segment 0
		.amdhsa_system_sgpr_workgroup_id_x 1
		.amdhsa_system_sgpr_workgroup_id_y 1
		.amdhsa_system_sgpr_workgroup_id_z 1
		.amdhsa_system_sgpr_workgroup_info 0
		.amdhsa_system_vgpr_workitem_id 0
		.amdhsa_next_free_vgpr 11
		.amdhsa_next_free_sgpr 46
		.amdhsa_reserve_vcc 1
		.amdhsa_float_round_mode_32 0
		.amdhsa_float_round_mode_16_64 0
		.amdhsa_float_denorm_mode_32 3
		.amdhsa_float_denorm_mode_16_64 3
		.amdhsa_fp16_overflow 0
		.amdhsa_workgroup_processor_mode 1
		.amdhsa_memory_ordered 1
		.amdhsa_forward_progress 1
		.amdhsa_inst_pref_size 6
		.amdhsa_round_robin_scheduling 0
		.amdhsa_exception_fp_ieee_invalid_op 0
		.amdhsa_exception_fp_denorm_src 0
		.amdhsa_exception_fp_ieee_div_zero 0
		.amdhsa_exception_fp_ieee_overflow 0
		.amdhsa_exception_fp_ieee_underflow 0
		.amdhsa_exception_fp_ieee_inexact 0
		.amdhsa_exception_int_div_zero 0
	.end_amdhsa_kernel
	.section	.text._ZL16dequantize_blockILi32ELi2EXadL_ZL15dequantize_q4_1PKvliR15HIP_vector_typeIfLj2EEEE6__halfEvS1_PT2_lllS2_IjLj3EElll,"axG",@progbits,_ZL16dequantize_blockILi32ELi2EXadL_ZL15dequantize_q4_1PKvliR15HIP_vector_typeIfLj2EEEE6__halfEvS1_PT2_lllS2_IjLj3EElll,comdat
.Lfunc_end41:
	.size	_ZL16dequantize_blockILi32ELi2EXadL_ZL15dequantize_q4_1PKvliR15HIP_vector_typeIfLj2EEEE6__halfEvS1_PT2_lllS2_IjLj3EElll, .Lfunc_end41-_ZL16dequantize_blockILi32ELi2EXadL_ZL15dequantize_q4_1PKvliR15HIP_vector_typeIfLj2EEEE6__halfEvS1_PT2_lllS2_IjLj3EElll
                                        ; -- End function
	.set _ZL16dequantize_blockILi32ELi2EXadL_ZL15dequantize_q4_1PKvliR15HIP_vector_typeIfLj2EEEE6__halfEvS1_PT2_lllS2_IjLj3EElll.num_vgpr, 11
	.set _ZL16dequantize_blockILi32ELi2EXadL_ZL15dequantize_q4_1PKvliR15HIP_vector_typeIfLj2EEEE6__halfEvS1_PT2_lllS2_IjLj3EElll.num_agpr, 0
	.set _ZL16dequantize_blockILi32ELi2EXadL_ZL15dequantize_q4_1PKvliR15HIP_vector_typeIfLj2EEEE6__halfEvS1_PT2_lllS2_IjLj3EElll.numbered_sgpr, 46
	.set _ZL16dequantize_blockILi32ELi2EXadL_ZL15dequantize_q4_1PKvliR15HIP_vector_typeIfLj2EEEE6__halfEvS1_PT2_lllS2_IjLj3EElll.num_named_barrier, 0
	.set _ZL16dequantize_blockILi32ELi2EXadL_ZL15dequantize_q4_1PKvliR15HIP_vector_typeIfLj2EEEE6__halfEvS1_PT2_lllS2_IjLj3EElll.private_seg_size, 0
	.set _ZL16dequantize_blockILi32ELi2EXadL_ZL15dequantize_q4_1PKvliR15HIP_vector_typeIfLj2EEEE6__halfEvS1_PT2_lllS2_IjLj3EElll.uses_vcc, 1
	.set _ZL16dequantize_blockILi32ELi2EXadL_ZL15dequantize_q4_1PKvliR15HIP_vector_typeIfLj2EEEE6__halfEvS1_PT2_lllS2_IjLj3EElll.uses_flat_scratch, 0
	.set _ZL16dequantize_blockILi32ELi2EXadL_ZL15dequantize_q4_1PKvliR15HIP_vector_typeIfLj2EEEE6__halfEvS1_PT2_lllS2_IjLj3EElll.has_dyn_sized_stack, 0
	.set _ZL16dequantize_blockILi32ELi2EXadL_ZL15dequantize_q4_1PKvliR15HIP_vector_typeIfLj2EEEE6__halfEvS1_PT2_lllS2_IjLj3EElll.has_recursion, 0
	.set _ZL16dequantize_blockILi32ELi2EXadL_ZL15dequantize_q4_1PKvliR15HIP_vector_typeIfLj2EEEE6__halfEvS1_PT2_lllS2_IjLj3EElll.has_indirect_call, 0
	.section	.AMDGPU.csdata,"",@progbits
; Kernel info:
; codeLenInByte = 756
; TotalNumSgprs: 48
; NumVgprs: 11
; ScratchSize: 0
; MemoryBound: 0
; FloatMode: 240
; IeeeMode: 1
; LDSByteSize: 0 bytes/workgroup (compile time only)
; SGPRBlocks: 0
; VGPRBlocks: 1
; NumSGPRsForWavesPerEU: 48
; NumVGPRsForWavesPerEU: 11
; Occupancy: 16
; WaveLimiterHint : 0
; COMPUTE_PGM_RSRC2:SCRATCH_EN: 0
; COMPUTE_PGM_RSRC2:USER_SGPR: 2
; COMPUTE_PGM_RSRC2:TRAP_HANDLER: 0
; COMPUTE_PGM_RSRC2:TGID_X_EN: 1
; COMPUTE_PGM_RSRC2:TGID_Y_EN: 1
; COMPUTE_PGM_RSRC2:TGID_Z_EN: 1
; COMPUTE_PGM_RSRC2:TIDIG_COMP_CNT: 0
	.section	.text._ZL16dequantize_blockILi32ELi2EXadL_ZL15dequantize_q5_0PKvliR15HIP_vector_typeIfLj2EEEE6__halfEvS1_PT2_lllS2_IjLj3EElll,"axG",@progbits,_ZL16dequantize_blockILi32ELi2EXadL_ZL15dequantize_q5_0PKvliR15HIP_vector_typeIfLj2EEEE6__halfEvS1_PT2_lllS2_IjLj3EElll,comdat
	.globl	_ZL16dequantize_blockILi32ELi2EXadL_ZL15dequantize_q5_0PKvliR15HIP_vector_typeIfLj2EEEE6__halfEvS1_PT2_lllS2_IjLj3EElll ; -- Begin function _ZL16dequantize_blockILi32ELi2EXadL_ZL15dequantize_q5_0PKvliR15HIP_vector_typeIfLj2EEEE6__halfEvS1_PT2_lllS2_IjLj3EElll
	.p2align	8
	.type	_ZL16dequantize_blockILi32ELi2EXadL_ZL15dequantize_q5_0PKvliR15HIP_vector_typeIfLj2EEEE6__halfEvS1_PT2_lllS2_IjLj3EElll,@function
_ZL16dequantize_blockILi32ELi2EXadL_ZL15dequantize_q5_0PKvliR15HIP_vector_typeIfLj2EEEE6__halfEvS1_PT2_lllS2_IjLj3EElll: ; @_ZL16dequantize_blockILi32ELi2EXadL_ZL15dequantize_q5_0PKvliR15HIP_vector_typeIfLj2EEEE6__halfEvS1_PT2_lllS2_IjLj3EElll
; %bb.0:
	s_clause 0x1
	s_load_b32 s2, s[0:1], 0x5c
	s_load_b128 s[4:7], s[0:1], 0x10
	v_mov_b32_e32 v1, 0
	s_wait_kmcnt 0x0
	s_and_b32 s2, s2, 0xffff
	s_delay_alu instid0(VALU_DEP_1) | instid1(SALU_CYCLE_1)
	v_mad_co_u64_u32 v[2:3], null, s2, ttmp9, v[0:1]
	s_mov_b32 s2, exec_lo
	v_lshlrev_b64_e32 v[0:1], 1, v[2:3]
	s_delay_alu instid0(VALU_DEP_1)
	v_cmpx_gt_i64_e64 s[4:5], v[0:1]
	s_cbranch_execz .LBB42_7
; %bb.1:
	s_load_b64 s[2:3], s[0:1], 0x20
	s_mov_b32 s21, 0
	s_and_b32 s20, ttmp7, 0xffff
	s_delay_alu instid0(SALU_CYCLE_1)
	v_cmp_le_i64_e64 s8, s[6:7], s[20:21]
	s_and_b32 vcc_lo, exec_lo, s8
	s_cbranch_vccnz .LBB42_7
; %bb.2:
	v_lshrrev_b64 v[0:1], 4, v[2:3]
	s_clause 0x1
	s_load_b96 s[16:18], s[0:1], 0x28
	s_load_b128 s[8:11], s[0:1], 0x0
	s_lshr_b32 s26, ttmp7, 16
	s_mov_b32 s27, s21
	s_add_nc_u64 s[22:23], s[0:1], 0x50
	s_clause 0x1
	s_load_b128 s[12:15], s[0:1], 0x38
	s_load_b64 s[24:25], s[0:1], 0x48
	s_mul_u64 s[0:1], s[6:7], s[26:27]
	v_and_b32_e32 v6, 15, v2
	s_load_b32 s30, s[22:23], 0x4
	s_add_nc_u64 s[0:1], s[0:1], s[20:21]
	v_lshlrev_b64_e32 v[2:3], 6, v[0:1]
	s_wait_alu 0xfffe
	s_mul_u64 s[0:1], s[4:5], s[0:1]
	v_lshlrev_b32_e32 v4, 1, v6
	s_wait_alu 0xfffe
	s_lshl_b64 s[0:1], s[0:1], 1
	s_mov_b32 s31, s21
	v_add_nc_u32_e32 v7, 12, v6
	s_wait_alu 0xfffe
	v_add_co_u32 v2, vcc_lo, s0, v2
	s_delay_alu instid0(VALU_DEP_1)
	v_add_co_ci_u32_e64 v3, null, s1, v3, vcc_lo
	s_mov_b32 s29, s21
	v_add_co_u32 v2, vcc_lo, v2, v4
	s_wait_alu 0xfffd
	v_add_co_ci_u32_e64 v3, null, 0, v3, vcc_lo
	s_wait_kmcnt 0x0
	s_mov_b32 s28, s16
	v_add_co_u32 v2, vcc_lo, s10, v2
	s_wait_alu 0xfffd
	v_add_co_ci_u32_e64 v3, null, s11, v3, vcc_lo
	s_mul_u64 s[0:1], s[4:5], s[30:31]
	v_add_co_u32 v2, vcc_lo, v2, 32
	s_wait_alu 0xfffe
	s_lshl_b64 s[10:11], s[0:1], 1
	v_cmp_gt_i64_e64 s1, s[2:3], s[26:27]
	s_wait_alu 0xfffd
	v_add_co_ci_u32_e64 v3, null, 0, v3, vcc_lo
	s_mul_u64 s[4:5], s[6:7], s[4:5]
	s_sub_co_i32 s16, 0, s18
	s_wait_alu 0xfffe
	s_lshl_b64 s[4:5], s[4:5], 1
	s_mov_b64 s[18:19], s[20:21]
	s_branch .LBB42_4
.LBB42_3:                               ;   in Loop: Header=BB42_4 Depth=1
	s_add_nc_u64 s[18:19], s[18:19], s[30:31]
	v_add_co_u32 v2, vcc_lo, v2, s10
	s_wait_alu 0xfffe
	v_cmp_ge_i64_e64 s0, s[18:19], s[6:7]
	s_wait_alu 0xfffd
	v_add_co_ci_u32_e64 v3, null, s11, v3, vcc_lo
	s_and_b32 vcc_lo, exec_lo, s0
	s_wait_alu 0xfffe
	s_cbranch_vccnz .LBB42_7
.LBB42_4:                               ; =>This Loop Header: Depth=1
                                        ;     Child Loop BB42_6 Depth 2
	s_and_not1_b32 vcc_lo, exec_lo, s1
	s_wait_alu 0xfffe
	s_cbranch_vccnz .LBB42_3
; %bb.5:                                ;   in Loop: Header=BB42_4 Depth=1
	s_load_b32 s34, s[22:23], 0x8
	v_dual_mov_b32 v5, v3 :: v_dual_mov_b32 v4, v2
	s_mul_u64 s[36:37], s[18:19], s[12:13]
	s_mov_b32 s35, s21
	s_mul_u64 s[36:37], s[36:37], 22
	s_mov_b64 s[40:41], s[26:27]
	s_wait_kmcnt 0x0
	s_mul_u64 s[38:39], s[4:5], s[34:35]
.LBB42_6:                               ;   Parent Loop BB42_4 Depth=1
                                        ; =>  This Inner Loop Header: Depth=2
	s_wait_alu 0xfffe
	s_mov_b32 s20, s40
	s_mov_b32 s43, s21
	s_wait_alu 0xfffe
	s_mul_u64 s[44:45], s[28:29], s[20:21]
	s_delay_alu instid0(SALU_CYCLE_1)
	s_add_co_i32 s0, s40, s45
	s_wait_alu 0xfffe
	s_lshr_b32 s42, s0, s17
	s_wait_alu 0xfffe
	s_mul_i32 s0, s16, s42
	s_mul_u64 s[42:43], s[24:25], s[42:43]
	s_wait_alu 0xfffe
	s_add_co_i32 s20, s40, s0
	s_mul_u64 s[42:43], s[42:43], 22
	s_wait_alu 0xfffe
	s_mul_u64 s[44:45], s[14:15], s[20:21]
	s_add_nc_u64 s[42:43], s[8:9], s[42:43]
	s_mul_u64 s[44:45], s[44:45], 22
	s_add_nc_u64 s[40:41], s[40:41], s[34:35]
	s_wait_alu 0xfffe
	s_add_nc_u64 s[42:43], s[42:43], s[44:45]
	v_cmp_ge_i64_e64 s0, s[40:41], s[2:3]
	s_wait_alu 0xfffe
	s_add_nc_u64 s[42:43], s[42:43], s[36:37]
	s_wait_alu 0xfffe
	v_mad_co_u64_u32 v[8:9], null, v0, 22, s[42:43]
	s_delay_alu instid0(VALU_DEP_1) | instskip(NEXT) | instid1(VALU_DEP_2)
	v_mad_co_u64_u32 v[10:11], null, v1, 22, v[9:10]
	v_add_co_u32 v11, vcc_lo, v8, v6
	s_delay_alu instid0(VALU_DEP_2)
	v_mov_b32_e32 v9, v10
	s_wait_alu 0xfffd
	v_add_co_ci_u32_e64 v12, null, 0, v10, vcc_lo
	s_and_b32 vcc_lo, exec_lo, s0
	s_clause 0x2
	global_load_b32 v10, v[8:9], off
	global_load_u16 v8, v[8:9], off offset:4
	global_load_u8 v9, v[11:12], off offset:6
	s_wait_loadcnt 0x1
	v_perm_b32 v8, v10, v8, 0x1000706
	s_wait_loadcnt 0x0
	v_lshrrev_b16 v11, 4, v9
	v_or_b32_e32 v9, -16, v9
	s_delay_alu instid0(VALU_DEP_3) | instskip(SKIP_1) | instid1(VALU_DEP_4)
	v_lshrrev_b32_e32 v12, v6, v8
	v_lshrrev_b32_e32 v8, v7, v8
	v_or_b32_e32 v11, -16, v11
	s_delay_alu instid0(VALU_DEP_3) | instskip(NEXT) | instid1(VALU_DEP_3)
	v_lshlrev_b32_e32 v12, 4, v12
	v_and_b32_e32 v8, 16, v8
	s_delay_alu instid0(VALU_DEP_3) | instskip(NEXT) | instid1(VALU_DEP_3)
	v_bfe_i32 v11, v11, 0, 16
	v_and_b32_e32 v12, 16, v12
	s_delay_alu instid0(VALU_DEP_2) | instskip(NEXT) | instid1(VALU_DEP_2)
	v_add_nc_u32_e32 v8, v8, v11
	v_add_nc_u32_e32 v9, v9, v12
	s_delay_alu instid0(VALU_DEP_2) | instskip(NEXT) | instid1(VALU_DEP_2)
	v_cvt_f32_i32_e32 v8, v8
	v_cvt_f32_i32_e32 v9, v9
	s_delay_alu instid0(VALU_DEP_2) | instskip(NEXT) | instid1(VALU_DEP_2)
	v_fma_mixlo_f16 v8, v10, v8, 0 op_sel_hi:[1,0,0]
	v_fma_mixlo_f16 v9, v10, v9, 0 op_sel_hi:[1,0,0]
	s_clause 0x1
	global_store_b16 v[4:5], v9, off offset:-32
	global_store_b16 v[4:5], v8, off
	v_add_co_u32 v4, s0, v4, s38
	s_wait_alu 0xf1ff
	v_add_co_ci_u32_e64 v5, null, s39, v5, s0
	s_wait_alu 0xfffe
	s_cbranch_vccz .LBB42_6
	s_branch .LBB42_3
.LBB42_7:
	s_endpgm
	.section	.rodata,"a",@progbits
	.p2align	6, 0x0
	.amdhsa_kernel _ZL16dequantize_blockILi32ELi2EXadL_ZL15dequantize_q5_0PKvliR15HIP_vector_typeIfLj2EEEE6__halfEvS1_PT2_lllS2_IjLj3EElll
		.amdhsa_group_segment_fixed_size 0
		.amdhsa_private_segment_fixed_size 0
		.amdhsa_kernarg_size 336
		.amdhsa_user_sgpr_count 2
		.amdhsa_user_sgpr_dispatch_ptr 0
		.amdhsa_user_sgpr_queue_ptr 0
		.amdhsa_user_sgpr_kernarg_segment_ptr 1
		.amdhsa_user_sgpr_dispatch_id 0
		.amdhsa_user_sgpr_private_segment_size 0
		.amdhsa_wavefront_size32 1
		.amdhsa_uses_dynamic_stack 0
		.amdhsa_enable_private_segment 0
		.amdhsa_system_sgpr_workgroup_id_x 1
		.amdhsa_system_sgpr_workgroup_id_y 1
		.amdhsa_system_sgpr_workgroup_id_z 1
		.amdhsa_system_sgpr_workgroup_info 0
		.amdhsa_system_vgpr_workitem_id 0
		.amdhsa_next_free_vgpr 13
		.amdhsa_next_free_sgpr 46
		.amdhsa_reserve_vcc 1
		.amdhsa_float_round_mode_32 0
		.amdhsa_float_round_mode_16_64 0
		.amdhsa_float_denorm_mode_32 3
		.amdhsa_float_denorm_mode_16_64 3
		.amdhsa_fp16_overflow 0
		.amdhsa_workgroup_processor_mode 1
		.amdhsa_memory_ordered 1
		.amdhsa_forward_progress 1
		.amdhsa_inst_pref_size 7
		.amdhsa_round_robin_scheduling 0
		.amdhsa_exception_fp_ieee_invalid_op 0
		.amdhsa_exception_fp_denorm_src 0
		.amdhsa_exception_fp_ieee_div_zero 0
		.amdhsa_exception_fp_ieee_overflow 0
		.amdhsa_exception_fp_ieee_underflow 0
		.amdhsa_exception_fp_ieee_inexact 0
		.amdhsa_exception_int_div_zero 0
	.end_amdhsa_kernel
	.section	.text._ZL16dequantize_blockILi32ELi2EXadL_ZL15dequantize_q5_0PKvliR15HIP_vector_typeIfLj2EEEE6__halfEvS1_PT2_lllS2_IjLj3EElll,"axG",@progbits,_ZL16dequantize_blockILi32ELi2EXadL_ZL15dequantize_q5_0PKvliR15HIP_vector_typeIfLj2EEEE6__halfEvS1_PT2_lllS2_IjLj3EElll,comdat
.Lfunc_end42:
	.size	_ZL16dequantize_blockILi32ELi2EXadL_ZL15dequantize_q5_0PKvliR15HIP_vector_typeIfLj2EEEE6__halfEvS1_PT2_lllS2_IjLj3EElll, .Lfunc_end42-_ZL16dequantize_blockILi32ELi2EXadL_ZL15dequantize_q5_0PKvliR15HIP_vector_typeIfLj2EEEE6__halfEvS1_PT2_lllS2_IjLj3EElll
                                        ; -- End function
	.set _ZL16dequantize_blockILi32ELi2EXadL_ZL15dequantize_q5_0PKvliR15HIP_vector_typeIfLj2EEEE6__halfEvS1_PT2_lllS2_IjLj3EElll.num_vgpr, 13
	.set _ZL16dequantize_blockILi32ELi2EXadL_ZL15dequantize_q5_0PKvliR15HIP_vector_typeIfLj2EEEE6__halfEvS1_PT2_lllS2_IjLj3EElll.num_agpr, 0
	.set _ZL16dequantize_blockILi32ELi2EXadL_ZL15dequantize_q5_0PKvliR15HIP_vector_typeIfLj2EEEE6__halfEvS1_PT2_lllS2_IjLj3EElll.numbered_sgpr, 46
	.set _ZL16dequantize_blockILi32ELi2EXadL_ZL15dequantize_q5_0PKvliR15HIP_vector_typeIfLj2EEEE6__halfEvS1_PT2_lllS2_IjLj3EElll.num_named_barrier, 0
	.set _ZL16dequantize_blockILi32ELi2EXadL_ZL15dequantize_q5_0PKvliR15HIP_vector_typeIfLj2EEEE6__halfEvS1_PT2_lllS2_IjLj3EElll.private_seg_size, 0
	.set _ZL16dequantize_blockILi32ELi2EXadL_ZL15dequantize_q5_0PKvliR15HIP_vector_typeIfLj2EEEE6__halfEvS1_PT2_lllS2_IjLj3EElll.uses_vcc, 1
	.set _ZL16dequantize_blockILi32ELi2EXadL_ZL15dequantize_q5_0PKvliR15HIP_vector_typeIfLj2EEEE6__halfEvS1_PT2_lllS2_IjLj3EElll.uses_flat_scratch, 0
	.set _ZL16dequantize_blockILi32ELi2EXadL_ZL15dequantize_q5_0PKvliR15HIP_vector_typeIfLj2EEEE6__halfEvS1_PT2_lllS2_IjLj3EElll.has_dyn_sized_stack, 0
	.set _ZL16dequantize_blockILi32ELi2EXadL_ZL15dequantize_q5_0PKvliR15HIP_vector_typeIfLj2EEEE6__halfEvS1_PT2_lllS2_IjLj3EElll.has_recursion, 0
	.set _ZL16dequantize_blockILi32ELi2EXadL_ZL15dequantize_q5_0PKvliR15HIP_vector_typeIfLj2EEEE6__halfEvS1_PT2_lllS2_IjLj3EElll.has_indirect_call, 0
	.section	.AMDGPU.csdata,"",@progbits
; Kernel info:
; codeLenInByte = 852
; TotalNumSgprs: 48
; NumVgprs: 13
; ScratchSize: 0
; MemoryBound: 0
; FloatMode: 240
; IeeeMode: 1
; LDSByteSize: 0 bytes/workgroup (compile time only)
; SGPRBlocks: 0
; VGPRBlocks: 1
; NumSGPRsForWavesPerEU: 48
; NumVGPRsForWavesPerEU: 13
; Occupancy: 16
; WaveLimiterHint : 0
; COMPUTE_PGM_RSRC2:SCRATCH_EN: 0
; COMPUTE_PGM_RSRC2:USER_SGPR: 2
; COMPUTE_PGM_RSRC2:TRAP_HANDLER: 0
; COMPUTE_PGM_RSRC2:TGID_X_EN: 1
; COMPUTE_PGM_RSRC2:TGID_Y_EN: 1
; COMPUTE_PGM_RSRC2:TGID_Z_EN: 1
; COMPUTE_PGM_RSRC2:TIDIG_COMP_CNT: 0
	.section	.text._ZL16dequantize_blockILi32ELi2EXadL_ZL15dequantize_q5_1PKvliR15HIP_vector_typeIfLj2EEEE6__halfEvS1_PT2_lllS2_IjLj3EElll,"axG",@progbits,_ZL16dequantize_blockILi32ELi2EXadL_ZL15dequantize_q5_1PKvliR15HIP_vector_typeIfLj2EEEE6__halfEvS1_PT2_lllS2_IjLj3EElll,comdat
	.globl	_ZL16dequantize_blockILi32ELi2EXadL_ZL15dequantize_q5_1PKvliR15HIP_vector_typeIfLj2EEEE6__halfEvS1_PT2_lllS2_IjLj3EElll ; -- Begin function _ZL16dequantize_blockILi32ELi2EXadL_ZL15dequantize_q5_1PKvliR15HIP_vector_typeIfLj2EEEE6__halfEvS1_PT2_lllS2_IjLj3EElll
	.p2align	8
	.type	_ZL16dequantize_blockILi32ELi2EXadL_ZL15dequantize_q5_1PKvliR15HIP_vector_typeIfLj2EEEE6__halfEvS1_PT2_lllS2_IjLj3EElll,@function
_ZL16dequantize_blockILi32ELi2EXadL_ZL15dequantize_q5_1PKvliR15HIP_vector_typeIfLj2EEEE6__halfEvS1_PT2_lllS2_IjLj3EElll: ; @_ZL16dequantize_blockILi32ELi2EXadL_ZL15dequantize_q5_1PKvliR15HIP_vector_typeIfLj2EEEE6__halfEvS1_PT2_lllS2_IjLj3EElll
; %bb.0:
	s_clause 0x1
	s_load_b32 s2, s[0:1], 0x5c
	s_load_b128 s[4:7], s[0:1], 0x10
	v_mov_b32_e32 v1, 0
	s_wait_kmcnt 0x0
	s_and_b32 s2, s2, 0xffff
	s_delay_alu instid0(VALU_DEP_1) | instid1(SALU_CYCLE_1)
	v_mad_co_u64_u32 v[2:3], null, s2, ttmp9, v[0:1]
	s_mov_b32 s2, exec_lo
	v_lshlrev_b64_e32 v[0:1], 1, v[2:3]
	s_delay_alu instid0(VALU_DEP_1)
	v_cmpx_gt_i64_e64 s[4:5], v[0:1]
	s_cbranch_execz .LBB43_7
; %bb.1:
	s_load_b64 s[2:3], s[0:1], 0x20
	s_mov_b32 s21, 0
	s_and_b32 s20, ttmp7, 0xffff
	s_delay_alu instid0(SALU_CYCLE_1)
	v_cmp_le_i64_e64 s8, s[6:7], s[20:21]
	s_and_b32 vcc_lo, exec_lo, s8
	s_cbranch_vccnz .LBB43_7
; %bb.2:
	v_lshrrev_b64 v[0:1], 4, v[2:3]
	s_clause 0x1
	s_load_b96 s[16:18], s[0:1], 0x28
	s_load_b128 s[8:11], s[0:1], 0x0
	s_lshr_b32 s26, ttmp7, 16
	s_mov_b32 s27, s21
	s_add_nc_u64 s[22:23], s[0:1], 0x50
	s_clause 0x1
	s_load_b128 s[12:15], s[0:1], 0x38
	s_load_b64 s[24:25], s[0:1], 0x48
	s_mul_u64 s[0:1], s[6:7], s[26:27]
	v_and_b32_e32 v6, 15, v2
	s_load_b32 s30, s[22:23], 0x4
	s_add_nc_u64 s[0:1], s[0:1], s[20:21]
	v_lshlrev_b64_e32 v[2:3], 6, v[0:1]
	s_wait_alu 0xfffe
	s_mul_u64 s[0:1], s[4:5], s[0:1]
	v_lshlrev_b32_e32 v4, 1, v6
	s_wait_alu 0xfffe
	s_lshl_b64 s[0:1], s[0:1], 1
	s_mov_b32 s31, s21
	v_add_nc_u32_e32 v7, 12, v6
	s_wait_alu 0xfffe
	v_add_co_u32 v2, vcc_lo, s0, v2
	s_delay_alu instid0(VALU_DEP_1)
	v_add_co_ci_u32_e64 v3, null, s1, v3, vcc_lo
	s_mov_b32 s29, s21
	v_add_co_u32 v2, vcc_lo, v2, v4
	s_wait_alu 0xfffd
	v_add_co_ci_u32_e64 v3, null, 0, v3, vcc_lo
	s_wait_kmcnt 0x0
	s_mov_b32 s28, s16
	v_add_co_u32 v2, vcc_lo, s10, v2
	s_wait_alu 0xfffd
	v_add_co_ci_u32_e64 v3, null, s11, v3, vcc_lo
	s_mul_u64 s[0:1], s[4:5], s[30:31]
	v_add_co_u32 v2, vcc_lo, v2, 32
	s_wait_alu 0xfffe
	s_lshl_b64 s[10:11], s[0:1], 1
	v_cmp_gt_i64_e64 s1, s[2:3], s[26:27]
	s_wait_alu 0xfffd
	v_add_co_ci_u32_e64 v3, null, 0, v3, vcc_lo
	s_mul_u64 s[4:5], s[6:7], s[4:5]
	s_sub_co_i32 s16, 0, s18
	s_wait_alu 0xfffe
	s_lshl_b64 s[4:5], s[4:5], 1
	s_mov_b64 s[18:19], s[20:21]
	s_branch .LBB43_4
.LBB43_3:                               ;   in Loop: Header=BB43_4 Depth=1
	s_add_nc_u64 s[18:19], s[18:19], s[30:31]
	v_add_co_u32 v2, vcc_lo, v2, s10
	s_wait_alu 0xfffe
	v_cmp_ge_i64_e64 s0, s[18:19], s[6:7]
	s_wait_alu 0xfffd
	v_add_co_ci_u32_e64 v3, null, s11, v3, vcc_lo
	s_and_b32 vcc_lo, exec_lo, s0
	s_wait_alu 0xfffe
	s_cbranch_vccnz .LBB43_7
.LBB43_4:                               ; =>This Loop Header: Depth=1
                                        ;     Child Loop BB43_6 Depth 2
	s_and_not1_b32 vcc_lo, exec_lo, s1
	s_wait_alu 0xfffe
	s_cbranch_vccnz .LBB43_3
; %bb.5:                                ;   in Loop: Header=BB43_4 Depth=1
	s_load_b32 s34, s[22:23], 0x8
	v_dual_mov_b32 v5, v3 :: v_dual_mov_b32 v4, v2
	s_mul_u64 s[36:37], s[18:19], s[12:13]
	s_mov_b32 s35, s21
	s_mul_u64 s[36:37], s[36:37], 24
	s_mov_b64 s[40:41], s[26:27]
	s_wait_kmcnt 0x0
	s_mul_u64 s[38:39], s[4:5], s[34:35]
.LBB43_6:                               ;   Parent Loop BB43_4 Depth=1
                                        ; =>  This Inner Loop Header: Depth=2
	s_wait_alu 0xfffe
	s_mov_b32 s20, s40
	s_mov_b32 s43, s21
	s_wait_alu 0xfffe
	s_mul_u64 s[44:45], s[28:29], s[20:21]
	s_delay_alu instid0(SALU_CYCLE_1)
	s_add_co_i32 s0, s40, s45
	s_wait_alu 0xfffe
	s_lshr_b32 s42, s0, s17
	s_wait_alu 0xfffe
	s_mul_i32 s0, s16, s42
	s_mul_u64 s[42:43], s[24:25], s[42:43]
	s_wait_alu 0xfffe
	s_add_co_i32 s20, s40, s0
	s_mul_u64 s[42:43], s[42:43], 24
	s_wait_alu 0xfffe
	s_mul_u64 s[44:45], s[14:15], s[20:21]
	s_add_nc_u64 s[42:43], s[8:9], s[42:43]
	s_mul_u64 s[44:45], s[44:45], 24
	s_add_nc_u64 s[40:41], s[40:41], s[34:35]
	s_wait_alu 0xfffe
	s_add_nc_u64 s[42:43], s[42:43], s[44:45]
	v_cmp_ge_i64_e64 s0, s[40:41], s[2:3]
	s_wait_alu 0xfffe
	s_add_nc_u64 s[42:43], s[42:43], s[36:37]
	s_wait_alu 0xfffe
	v_mad_co_u64_u32 v[8:9], null, v0, 24, s[42:43]
	s_delay_alu instid0(VALU_DEP_1) | instskip(NEXT) | instid1(VALU_DEP_2)
	v_mad_co_u64_u32 v[10:11], null, v1, 24, v[9:10]
	v_add_co_u32 v11, vcc_lo, v8, v6
	s_delay_alu instid0(VALU_DEP_2)
	v_mov_b32_e32 v9, v10
	s_wait_alu 0xfffd
	v_add_co_ci_u32_e64 v12, null, 0, v10, vcc_lo
	s_and_b32 vcc_lo, exec_lo, s0
	s_clause 0x1
	global_load_b64 v[8:9], v[8:9], off
	global_load_u8 v10, v[11:12], off offset:8
	s_wait_loadcnt 0x1
	v_lshrrev_b32_e32 v11, v6, v9
	v_lshrrev_b32_e32 v9, v7, v9
	s_wait_loadcnt 0x0
	v_and_b32_e32 v12, 15, v10
	v_lshrrev_b16 v10, 4, v10
	v_lshlrev_b32_e32 v11, 4, v11
	s_delay_alu instid0(VALU_DEP_2) | instskip(NEXT) | instid1(VALU_DEP_2)
	v_and_or_b32 v9, v9, 16, v10
	v_and_or_b32 v10, v11, 16, v12
	s_delay_alu instid0(VALU_DEP_2) | instskip(NEXT) | instid1(VALU_DEP_2)
	v_cvt_f32_ubyte0_e32 v9, v9
	v_cvt_f32_ubyte0_e32 v10, v10
	s_delay_alu instid0(VALU_DEP_2) | instskip(NEXT) | instid1(VALU_DEP_2)
	v_fma_mixlo_f16 v9, v8, v9, v8 op_sel:[0,0,1] op_sel_hi:[1,0,1]
	v_fma_mixlo_f16 v8, v8, v10, v8 op_sel:[0,0,1] op_sel_hi:[1,0,1]
	s_clause 0x1
	global_store_b16 v[4:5], v8, off offset:-32
	global_store_b16 v[4:5], v9, off
	v_add_co_u32 v4, s0, v4, s38
	s_wait_alu 0xf1ff
	v_add_co_ci_u32_e64 v5, null, s39, v5, s0
	s_wait_alu 0xfffe
	s_cbranch_vccz .LBB43_6
	s_branch .LBB43_3
.LBB43_7:
	s_endpgm
	.section	.rodata,"a",@progbits
	.p2align	6, 0x0
	.amdhsa_kernel _ZL16dequantize_blockILi32ELi2EXadL_ZL15dequantize_q5_1PKvliR15HIP_vector_typeIfLj2EEEE6__halfEvS1_PT2_lllS2_IjLj3EElll
		.amdhsa_group_segment_fixed_size 0
		.amdhsa_private_segment_fixed_size 0
		.amdhsa_kernarg_size 336
		.amdhsa_user_sgpr_count 2
		.amdhsa_user_sgpr_dispatch_ptr 0
		.amdhsa_user_sgpr_queue_ptr 0
		.amdhsa_user_sgpr_kernarg_segment_ptr 1
		.amdhsa_user_sgpr_dispatch_id 0
		.amdhsa_user_sgpr_private_segment_size 0
		.amdhsa_wavefront_size32 1
		.amdhsa_uses_dynamic_stack 0
		.amdhsa_enable_private_segment 0
		.amdhsa_system_sgpr_workgroup_id_x 1
		.amdhsa_system_sgpr_workgroup_id_y 1
		.amdhsa_system_sgpr_workgroup_id_z 1
		.amdhsa_system_sgpr_workgroup_info 0
		.amdhsa_system_vgpr_workitem_id 0
		.amdhsa_next_free_vgpr 13
		.amdhsa_next_free_sgpr 46
		.amdhsa_reserve_vcc 1
		.amdhsa_float_round_mode_32 0
		.amdhsa_float_round_mode_16_64 0
		.amdhsa_float_denorm_mode_32 3
		.amdhsa_float_denorm_mode_16_64 3
		.amdhsa_fp16_overflow 0
		.amdhsa_workgroup_processor_mode 1
		.amdhsa_memory_ordered 1
		.amdhsa_forward_progress 1
		.amdhsa_inst_pref_size 7
		.amdhsa_round_robin_scheduling 0
		.amdhsa_exception_fp_ieee_invalid_op 0
		.amdhsa_exception_fp_denorm_src 0
		.amdhsa_exception_fp_ieee_div_zero 0
		.amdhsa_exception_fp_ieee_overflow 0
		.amdhsa_exception_fp_ieee_underflow 0
		.amdhsa_exception_fp_ieee_inexact 0
		.amdhsa_exception_int_div_zero 0
	.end_amdhsa_kernel
	.section	.text._ZL16dequantize_blockILi32ELi2EXadL_ZL15dequantize_q5_1PKvliR15HIP_vector_typeIfLj2EEEE6__halfEvS1_PT2_lllS2_IjLj3EElll,"axG",@progbits,_ZL16dequantize_blockILi32ELi2EXadL_ZL15dequantize_q5_1PKvliR15HIP_vector_typeIfLj2EEEE6__halfEvS1_PT2_lllS2_IjLj3EElll,comdat
.Lfunc_end43:
	.size	_ZL16dequantize_blockILi32ELi2EXadL_ZL15dequantize_q5_1PKvliR15HIP_vector_typeIfLj2EEEE6__halfEvS1_PT2_lllS2_IjLj3EElll, .Lfunc_end43-_ZL16dequantize_blockILi32ELi2EXadL_ZL15dequantize_q5_1PKvliR15HIP_vector_typeIfLj2EEEE6__halfEvS1_PT2_lllS2_IjLj3EElll
                                        ; -- End function
	.set _ZL16dequantize_blockILi32ELi2EXadL_ZL15dequantize_q5_1PKvliR15HIP_vector_typeIfLj2EEEE6__halfEvS1_PT2_lllS2_IjLj3EElll.num_vgpr, 13
	.set _ZL16dequantize_blockILi32ELi2EXadL_ZL15dequantize_q5_1PKvliR15HIP_vector_typeIfLj2EEEE6__halfEvS1_PT2_lllS2_IjLj3EElll.num_agpr, 0
	.set _ZL16dequantize_blockILi32ELi2EXadL_ZL15dequantize_q5_1PKvliR15HIP_vector_typeIfLj2EEEE6__halfEvS1_PT2_lllS2_IjLj3EElll.numbered_sgpr, 46
	.set _ZL16dequantize_blockILi32ELi2EXadL_ZL15dequantize_q5_1PKvliR15HIP_vector_typeIfLj2EEEE6__halfEvS1_PT2_lllS2_IjLj3EElll.num_named_barrier, 0
	.set _ZL16dequantize_blockILi32ELi2EXadL_ZL15dequantize_q5_1PKvliR15HIP_vector_typeIfLj2EEEE6__halfEvS1_PT2_lllS2_IjLj3EElll.private_seg_size, 0
	.set _ZL16dequantize_blockILi32ELi2EXadL_ZL15dequantize_q5_1PKvliR15HIP_vector_typeIfLj2EEEE6__halfEvS1_PT2_lllS2_IjLj3EElll.uses_vcc, 1
	.set _ZL16dequantize_blockILi32ELi2EXadL_ZL15dequantize_q5_1PKvliR15HIP_vector_typeIfLj2EEEE6__halfEvS1_PT2_lllS2_IjLj3EElll.uses_flat_scratch, 0
	.set _ZL16dequantize_blockILi32ELi2EXadL_ZL15dequantize_q5_1PKvliR15HIP_vector_typeIfLj2EEEE6__halfEvS1_PT2_lllS2_IjLj3EElll.has_dyn_sized_stack, 0
	.set _ZL16dequantize_blockILi32ELi2EXadL_ZL15dequantize_q5_1PKvliR15HIP_vector_typeIfLj2EEEE6__halfEvS1_PT2_lllS2_IjLj3EElll.has_recursion, 0
	.set _ZL16dequantize_blockILi32ELi2EXadL_ZL15dequantize_q5_1PKvliR15HIP_vector_typeIfLj2EEEE6__halfEvS1_PT2_lllS2_IjLj3EElll.has_indirect_call, 0
	.section	.AMDGPU.csdata,"",@progbits
; Kernel info:
; codeLenInByte = 804
; TotalNumSgprs: 48
; NumVgprs: 13
; ScratchSize: 0
; MemoryBound: 0
; FloatMode: 240
; IeeeMode: 1
; LDSByteSize: 0 bytes/workgroup (compile time only)
; SGPRBlocks: 0
; VGPRBlocks: 1
; NumSGPRsForWavesPerEU: 48
; NumVGPRsForWavesPerEU: 13
; Occupancy: 16
; WaveLimiterHint : 0
; COMPUTE_PGM_RSRC2:SCRATCH_EN: 0
; COMPUTE_PGM_RSRC2:USER_SGPR: 2
; COMPUTE_PGM_RSRC2:TRAP_HANDLER: 0
; COMPUTE_PGM_RSRC2:TGID_X_EN: 1
; COMPUTE_PGM_RSRC2:TGID_Y_EN: 1
; COMPUTE_PGM_RSRC2:TGID_Z_EN: 1
; COMPUTE_PGM_RSRC2:TIDIG_COMP_CNT: 0
	.section	.text._ZL16dequantize_blockILi32ELi1EXadL_ZL15dequantize_q8_0PKvliR15HIP_vector_typeIfLj2EEEE6__halfEvS1_PT2_lllS2_IjLj3EElll,"axG",@progbits,_ZL16dequantize_blockILi32ELi1EXadL_ZL15dequantize_q8_0PKvliR15HIP_vector_typeIfLj2EEEE6__halfEvS1_PT2_lllS2_IjLj3EElll,comdat
	.globl	_ZL16dequantize_blockILi32ELi1EXadL_ZL15dequantize_q8_0PKvliR15HIP_vector_typeIfLj2EEEE6__halfEvS1_PT2_lllS2_IjLj3EElll ; -- Begin function _ZL16dequantize_blockILi32ELi1EXadL_ZL15dequantize_q8_0PKvliR15HIP_vector_typeIfLj2EEEE6__halfEvS1_PT2_lllS2_IjLj3EElll
	.p2align	8
	.type	_ZL16dequantize_blockILi32ELi1EXadL_ZL15dequantize_q8_0PKvliR15HIP_vector_typeIfLj2EEEE6__halfEvS1_PT2_lllS2_IjLj3EElll,@function
_ZL16dequantize_blockILi32ELi1EXadL_ZL15dequantize_q8_0PKvliR15HIP_vector_typeIfLj2EEEE6__halfEvS1_PT2_lllS2_IjLj3EElll: ; @_ZL16dequantize_blockILi32ELi1EXadL_ZL15dequantize_q8_0PKvliR15HIP_vector_typeIfLj2EEEE6__halfEvS1_PT2_lllS2_IjLj3EElll
; %bb.0:
	s_clause 0x1
	s_load_b32 s19, s[0:1], 0x5c
	s_load_b128 s[4:7], s[0:1], 0x10
	v_mov_b32_e32 v1, 0
	s_wait_kmcnt 0x0
	s_and_b32 s2, s19, 0xffff
	s_delay_alu instid0(VALU_DEP_1) | instid1(SALU_CYCLE_1)
	v_mad_co_u64_u32 v[4:5], null, s2, ttmp9, v[0:1]
	s_mov_b32 s2, exec_lo
	v_lshlrev_b64_e32 v[2:3], 1, v[4:5]
	s_delay_alu instid0(VALU_DEP_1)
	v_cmpx_gt_i64_e64 s[4:5], v[2:3]
	s_cbranch_execz .LBB44_7
; %bb.1:
	s_load_b64 s[2:3], s[0:1], 0x20
	s_mov_b32 s21, 0
	s_and_b32 s20, ttmp7, 0xffff
	s_delay_alu instid0(SALU_CYCLE_1)
	v_cmp_le_i64_e64 s8, s[6:7], s[20:21]
	s_and_b32 vcc_lo, exec_lo, s8
	s_cbranch_vccnz .LBB44_7
; %bb.2:
	s_clause 0x1
	s_load_b96 s[16:18], s[0:1], 0x28
	s_load_b128 s[8:11], s[0:1], 0x0
	s_add_nc_u64 s[22:23], s[0:1], 0x50
	s_clause 0x1
	s_load_b128 s[12:15], s[0:1], 0x38
	s_load_b64 s[24:25], s[0:1], 0x48
	s_mul_i32 s0, ttmp9, s19
	s_wait_alu 0xfffe
	s_lshr_b32 s26, ttmp7, 16
	v_add_nc_u16 v3, s0, v0
	v_lshrrev_b64 v[0:1], 4, v[4:5]
	s_mov_b32 s27, s21
	s_load_b32 s28, s[22:23], 0x4
	s_mul_u64 s[0:1], s[6:7], s[26:27]
	v_and_b32_e32 v5, 15, v3
	s_wait_alu 0xfffe
	s_add_nc_u64 s[0:1], s[0:1], s[20:21]
	v_lshlrev_b64_e32 v[3:4], 6, v[0:1]
	s_wait_alu 0xfffe
	s_mul_u64 s[0:1], s[4:5], s[0:1]
	v_and_b32_e32 v6, 30, v2
	s_wait_alu 0xfffe
	s_lshl_b64 s[0:1], s[0:1], 1
	v_lshlrev_b32_e32 v5, 2, v5
	s_mov_b32 s29, s21
	s_wait_alu 0xfffe
	v_add_co_u32 v3, vcc_lo, s0, v3
	s_delay_alu instid0(VALU_DEP_1)
	v_add_co_ci_u32_e64 v4, null, s1, v4, vcc_lo
	s_mov_b32 s31, s21
	v_add_co_u32 v2, vcc_lo, v3, v5
	s_wait_alu 0xfffd
	v_add_co_ci_u32_e64 v3, null, 0, v4, vcc_lo
	s_wait_kmcnt 0x0
	s_mov_b32 s30, s16
	v_add_co_u32 v2, vcc_lo, s10, v2
	s_wait_alu 0xfffd
	v_add_co_ci_u32_e64 v3, null, s11, v3, vcc_lo
	s_mul_u64 s[0:1], s[4:5], s[28:29]
	v_add_co_u32 v2, vcc_lo, v2, 2
	s_wait_alu 0xfffe
	s_lshl_b64 s[10:11], s[0:1], 1
	v_cmp_gt_i64_e64 s1, s[2:3], s[26:27]
	s_wait_alu 0xfffd
	v_add_co_ci_u32_e64 v3, null, 0, v3, vcc_lo
	s_mul_u64 s[4:5], s[6:7], s[4:5]
	s_sub_co_i32 s16, 0, s18
	s_wait_alu 0xfffe
	s_lshl_b64 s[4:5], s[4:5], 1
	s_mov_b64 s[18:19], s[20:21]
	s_branch .LBB44_4
.LBB44_3:                               ;   in Loop: Header=BB44_4 Depth=1
	s_add_nc_u64 s[18:19], s[18:19], s[28:29]
	v_add_co_u32 v2, vcc_lo, v2, s10
	s_wait_alu 0xfffe
	v_cmp_ge_i64_e64 s0, s[18:19], s[6:7]
	s_wait_alu 0xfffd
	v_add_co_ci_u32_e64 v3, null, s11, v3, vcc_lo
	s_and_b32 vcc_lo, exec_lo, s0
	s_wait_alu 0xfffe
	s_cbranch_vccnz .LBB44_7
.LBB44_4:                               ; =>This Loop Header: Depth=1
                                        ;     Child Loop BB44_6 Depth 2
	s_and_not1_b32 vcc_lo, exec_lo, s1
	s_wait_alu 0xfffe
	s_cbranch_vccnz .LBB44_3
; %bb.5:                                ;   in Loop: Header=BB44_4 Depth=1
	s_load_b32 s34, s[22:23], 0x8
	v_dual_mov_b32 v5, v3 :: v_dual_mov_b32 v4, v2
	s_mul_u64 s[36:37], s[18:19], s[12:13]
	s_mov_b32 s35, s21
	s_mul_u64 s[36:37], s[36:37], 34
	s_mov_b64 s[40:41], s[26:27]
	s_wait_kmcnt 0x0
	s_mul_u64 s[38:39], s[4:5], s[34:35]
.LBB44_6:                               ;   Parent Loop BB44_4 Depth=1
                                        ; =>  This Inner Loop Header: Depth=2
	s_wait_alu 0xfffe
	s_mov_b32 s20, s40
	s_mov_b32 s43, s21
	s_wait_alu 0xfffe
	s_mul_u64 s[44:45], s[30:31], s[20:21]
	s_delay_alu instid0(SALU_CYCLE_1)
	s_add_co_i32 s0, s40, s45
	s_wait_alu 0xfffe
	s_lshr_b32 s42, s0, s17
	s_wait_alu 0xfffe
	s_mul_i32 s0, s16, s42
	s_mul_u64 s[42:43], s[24:25], s[42:43]
	s_wait_alu 0xfffe
	s_add_co_i32 s20, s40, s0
	s_mul_u64 s[42:43], s[42:43], 34
	s_wait_alu 0xfffe
	s_mul_u64 s[44:45], s[14:15], s[20:21]
	s_add_nc_u64 s[42:43], s[8:9], s[42:43]
	s_mul_u64 s[44:45], s[44:45], 34
	s_add_nc_u64 s[40:41], s[40:41], s[34:35]
	s_wait_alu 0xfffe
	s_add_nc_u64 s[42:43], s[42:43], s[44:45]
	v_cmp_ge_i64_e64 s0, s[40:41], s[2:3]
	s_wait_alu 0xfffe
	s_add_nc_u64 s[42:43], s[42:43], s[36:37]
	s_wait_alu 0xfffe
	v_mad_co_u64_u32 v[7:8], null, v0, 34, s[42:43]
	s_delay_alu instid0(VALU_DEP_1) | instskip(NEXT) | instid1(VALU_DEP_2)
	v_mad_co_u64_u32 v[8:9], null, v1, 34, v[8:9]
	v_add_co_u32 v9, vcc_lo, v7, v6
	s_wait_alu 0xfffd
	s_delay_alu instid0(VALU_DEP_2)
	v_add_co_ci_u32_e64 v10, null, 0, v8, vcc_lo
	s_and_b32 vcc_lo, exec_lo, s0
	s_clause 0x1
	global_load_u16 v9, v[9:10], off offset:2
	global_load_u16 v7, v[7:8], off
	s_wait_loadcnt 0x1
	v_bfe_i32 v8, v9, 0, 8
	v_ashrrev_i16 v9, 8, v9
	s_delay_alu instid0(VALU_DEP_2) | instskip(NEXT) | instid1(VALU_DEP_2)
	v_bfe_i32 v8, v8, 0, 16
	v_bfe_i32 v9, v9, 0, 16
	s_delay_alu instid0(VALU_DEP_2) | instskip(NEXT) | instid1(VALU_DEP_2)
	v_cvt_f32_i32_e32 v8, v8
	v_cvt_f32_i32_e32 v9, v9
	s_wait_loadcnt 0x0
	s_delay_alu instid0(VALU_DEP_2) | instskip(NEXT) | instid1(VALU_DEP_1)
	v_fma_mixlo_f16 v8, v7, v8, 0 op_sel_hi:[1,0,0]
	v_fma_mixhi_f16 v8, v7, v9, 0 op_sel_hi:[1,0,0]
	global_store_b32 v[4:5], v8, off offset:-2
	v_add_co_u32 v4, s0, v4, s38
	s_wait_alu 0xf1ff
	v_add_co_ci_u32_e64 v5, null, s39, v5, s0
	s_wait_alu 0xfffe
	s_cbranch_vccz .LBB44_6
	s_branch .LBB44_3
.LBB44_7:
	s_endpgm
	.section	.rodata,"a",@progbits
	.p2align	6, 0x0
	.amdhsa_kernel _ZL16dequantize_blockILi32ELi1EXadL_ZL15dequantize_q8_0PKvliR15HIP_vector_typeIfLj2EEEE6__halfEvS1_PT2_lllS2_IjLj3EElll
		.amdhsa_group_segment_fixed_size 0
		.amdhsa_private_segment_fixed_size 0
		.amdhsa_kernarg_size 336
		.amdhsa_user_sgpr_count 2
		.amdhsa_user_sgpr_dispatch_ptr 0
		.amdhsa_user_sgpr_queue_ptr 0
		.amdhsa_user_sgpr_kernarg_segment_ptr 1
		.amdhsa_user_sgpr_dispatch_id 0
		.amdhsa_user_sgpr_private_segment_size 0
		.amdhsa_wavefront_size32 1
		.amdhsa_uses_dynamic_stack 0
		.amdhsa_enable_private_segment 0
		.amdhsa_system_sgpr_workgroup_id_x 1
		.amdhsa_system_sgpr_workgroup_id_y 1
		.amdhsa_system_sgpr_workgroup_id_z 1
		.amdhsa_system_sgpr_workgroup_info 0
		.amdhsa_system_vgpr_workitem_id 0
		.amdhsa_next_free_vgpr 11
		.amdhsa_next_free_sgpr 46
		.amdhsa_reserve_vcc 1
		.amdhsa_float_round_mode_32 0
		.amdhsa_float_round_mode_16_64 0
		.amdhsa_float_denorm_mode_32 3
		.amdhsa_float_denorm_mode_16_64 3
		.amdhsa_fp16_overflow 0
		.amdhsa_workgroup_processor_mode 1
		.amdhsa_memory_ordered 1
		.amdhsa_forward_progress 1
		.amdhsa_inst_pref_size 7
		.amdhsa_round_robin_scheduling 0
		.amdhsa_exception_fp_ieee_invalid_op 0
		.amdhsa_exception_fp_denorm_src 0
		.amdhsa_exception_fp_ieee_div_zero 0
		.amdhsa_exception_fp_ieee_overflow 0
		.amdhsa_exception_fp_ieee_underflow 0
		.amdhsa_exception_fp_ieee_inexact 0
		.amdhsa_exception_int_div_zero 0
	.end_amdhsa_kernel
	.section	.text._ZL16dequantize_blockILi32ELi1EXadL_ZL15dequantize_q8_0PKvliR15HIP_vector_typeIfLj2EEEE6__halfEvS1_PT2_lllS2_IjLj3EElll,"axG",@progbits,_ZL16dequantize_blockILi32ELi1EXadL_ZL15dequantize_q8_0PKvliR15HIP_vector_typeIfLj2EEEE6__halfEvS1_PT2_lllS2_IjLj3EElll,comdat
.Lfunc_end44:
	.size	_ZL16dequantize_blockILi32ELi1EXadL_ZL15dequantize_q8_0PKvliR15HIP_vector_typeIfLj2EEEE6__halfEvS1_PT2_lllS2_IjLj3EElll, .Lfunc_end44-_ZL16dequantize_blockILi32ELi1EXadL_ZL15dequantize_q8_0PKvliR15HIP_vector_typeIfLj2EEEE6__halfEvS1_PT2_lllS2_IjLj3EElll
                                        ; -- End function
	.set _ZL16dequantize_blockILi32ELi1EXadL_ZL15dequantize_q8_0PKvliR15HIP_vector_typeIfLj2EEEE6__halfEvS1_PT2_lllS2_IjLj3EElll.num_vgpr, 11
	.set _ZL16dequantize_blockILi32ELi1EXadL_ZL15dequantize_q8_0PKvliR15HIP_vector_typeIfLj2EEEE6__halfEvS1_PT2_lllS2_IjLj3EElll.num_agpr, 0
	.set _ZL16dequantize_blockILi32ELi1EXadL_ZL15dequantize_q8_0PKvliR15HIP_vector_typeIfLj2EEEE6__halfEvS1_PT2_lllS2_IjLj3EElll.numbered_sgpr, 46
	.set _ZL16dequantize_blockILi32ELi1EXadL_ZL15dequantize_q8_0PKvliR15HIP_vector_typeIfLj2EEEE6__halfEvS1_PT2_lllS2_IjLj3EElll.num_named_barrier, 0
	.set _ZL16dequantize_blockILi32ELi1EXadL_ZL15dequantize_q8_0PKvliR15HIP_vector_typeIfLj2EEEE6__halfEvS1_PT2_lllS2_IjLj3EElll.private_seg_size, 0
	.set _ZL16dequantize_blockILi32ELi1EXadL_ZL15dequantize_q8_0PKvliR15HIP_vector_typeIfLj2EEEE6__halfEvS1_PT2_lllS2_IjLj3EElll.uses_vcc, 1
	.set _ZL16dequantize_blockILi32ELi1EXadL_ZL15dequantize_q8_0PKvliR15HIP_vector_typeIfLj2EEEE6__halfEvS1_PT2_lllS2_IjLj3EElll.uses_flat_scratch, 0
	.set _ZL16dequantize_blockILi32ELi1EXadL_ZL15dequantize_q8_0PKvliR15HIP_vector_typeIfLj2EEEE6__halfEvS1_PT2_lllS2_IjLj3EElll.has_dyn_sized_stack, 0
	.set _ZL16dequantize_blockILi32ELi1EXadL_ZL15dequantize_q8_0PKvliR15HIP_vector_typeIfLj2EEEE6__halfEvS1_PT2_lllS2_IjLj3EElll.has_recursion, 0
	.set _ZL16dequantize_blockILi32ELi1EXadL_ZL15dequantize_q8_0PKvliR15HIP_vector_typeIfLj2EEEE6__halfEvS1_PT2_lllS2_IjLj3EElll.has_indirect_call, 0
	.section	.AMDGPU.csdata,"",@progbits
; Kernel info:
; codeLenInByte = 796
; TotalNumSgprs: 48
; NumVgprs: 11
; ScratchSize: 0
; MemoryBound: 0
; FloatMode: 240
; IeeeMode: 1
; LDSByteSize: 0 bytes/workgroup (compile time only)
; SGPRBlocks: 0
; VGPRBlocks: 1
; NumSGPRsForWavesPerEU: 48
; NumVGPRsForWavesPerEU: 11
; Occupancy: 16
; WaveLimiterHint : 0
; COMPUTE_PGM_RSRC2:SCRATCH_EN: 0
; COMPUTE_PGM_RSRC2:USER_SGPR: 2
; COMPUTE_PGM_RSRC2:TRAP_HANDLER: 0
; COMPUTE_PGM_RSRC2:TGID_X_EN: 1
; COMPUTE_PGM_RSRC2:TGID_Y_EN: 1
; COMPUTE_PGM_RSRC2:TGID_Z_EN: 1
; COMPUTE_PGM_RSRC2:TIDIG_COMP_CNT: 0
	.section	.text._ZL13convert_unaryI14__hip_bfloat166__halfEvPKvPT0_lll15HIP_vector_typeIjLj3EElll,"axG",@progbits,_ZL13convert_unaryI14__hip_bfloat166__halfEvPKvPT0_lll15HIP_vector_typeIjLj3EElll,comdat
	.globl	_ZL13convert_unaryI14__hip_bfloat166__halfEvPKvPT0_lll15HIP_vector_typeIjLj3EElll ; -- Begin function _ZL13convert_unaryI14__hip_bfloat166__halfEvPKvPT0_lll15HIP_vector_typeIjLj3EElll
	.p2align	8
	.type	_ZL13convert_unaryI14__hip_bfloat166__halfEvPKvPT0_lll15HIP_vector_typeIjLj3EElll,@function
_ZL13convert_unaryI14__hip_bfloat166__halfEvPKvPT0_lll15HIP_vector_typeIjLj3EElll: ; @_ZL13convert_unaryI14__hip_bfloat166__halfEvPKvPT0_lll15HIP_vector_typeIjLj3EElll
; %bb.0:
	s_clause 0x1
	s_load_b32 s2, s[0:1], 0x5c
	s_load_b128 s[4:7], s[0:1], 0x10
	v_mov_b32_e32 v1, 0
	s_wait_kmcnt 0x0
	s_and_b32 s2, s2, 0xffff
	s_delay_alu instid0(VALU_DEP_1) | instid1(SALU_CYCLE_1)
	v_mad_co_u64_u32 v[0:1], null, s2, ttmp9, v[0:1]
	s_mov_b32 s2, exec_lo
	v_cmpx_gt_i64_e64 s[4:5], v[0:1]
	s_cbranch_execz .LBB45_16
; %bb.1:
	s_load_b64 s[2:3], s[0:1], 0x20
	s_mov_b32 s21, 0
	s_and_b32 s20, ttmp7, 0xffff
	s_delay_alu instid0(SALU_CYCLE_1)
	v_cmp_le_i64_e64 s8, s[6:7], s[20:21]
	s_and_b32 vcc_lo, exec_lo, s8
	s_cbranch_vccnz .LBB45_16
; %bb.2:
	s_clause 0x3
	s_load_b128 s[8:11], s[0:1], 0x0
	s_load_b96 s[16:18], s[0:1], 0x28
	s_load_b128 s[12:15], s[0:1], 0x38
	s_load_b64 s[22:23], s[0:1], 0x48
	s_add_nc_u64 s[24:25], s[0:1], 0x50
	v_lshlrev_b64_e32 v[0:1], 1, v[0:1]
	s_load_b32 s30, s[24:25], 0x4
	s_lshr_b32 s26, ttmp7, 16
	s_mov_b32 s27, s21
	s_mul_u64 s[0:1], s[6:7], s[4:5]
	s_wait_kmcnt 0x0
	v_cmp_gt_i64_e64 s75, s[2:3], s[26:27]
	s_mov_b32 s29, s21
	s_mov_b32 s31, s21
	;; [unrolled: 1-line block ×9, first 2 shown]
	v_add_co_u32 v2, vcc_lo, s10, v0
	s_delay_alu instid0(VALU_DEP_1)
	v_add_co_ci_u32_e64 v3, null, s11, v1, vcc_lo
	s_mov_b32 s28, s16
	s_mov_b32 s34, s16
	;; [unrolled: 1-line block ×19, first 2 shown]
	s_lshl_b64 s[4:5], s[4:5], 1
	s_wait_alu 0xfffe
	s_lshl_b64 s[52:53], s[0:1], 1
	s_sub_co_i32 s76, 0, s18
	s_mov_b32 s77, 0x4f800000
	s_mov_b64 s[18:19], s[20:21]
	s_branch .LBB45_4
.LBB45_3:                               ;   in Loop: Header=BB45_4 Depth=1
	s_add_nc_u64 s[18:19], s[18:19], s[30:31]
	s_wait_alu 0xfffe
	v_cmp_ge_i64_e64 s0, s[18:19], s[6:7]
	s_and_b32 vcc_lo, exec_lo, s0
	s_wait_alu 0xfffe
	s_cbranch_vccnz .LBB45_16
.LBB45_4:                               ; =>This Loop Header: Depth=1
                                        ;     Child Loop BB45_10 Depth 2
                                        ;     Child Loop BB45_14 Depth 2
	s_and_not1_b32 vcc_lo, exec_lo, s75
	s_wait_alu 0xfffe
	s_cbranch_vccnz .LBB45_3
; %bb.5:                                ;   in Loop: Header=BB45_4 Depth=1
	s_load_b32 s54, s[24:25], 0x8
	s_mov_b32 s55, s21
	s_wait_kmcnt 0x0
	s_wait_alu 0xfffe
	s_add_nc_u64 s[0:1], s[26:27], s[54:55]
	s_wait_alu 0xfffe
	v_cmp_gt_i64_e64 s58, s[2:3], s[0:1]
	s_wait_alu 0xf1ff
	s_delay_alu instid0(VALU_DEP_1) | instskip(SKIP_3) | instid1(VALU_DEP_1)
	v_cndmask_b32_e64 v4, 0, 1, s58
	s_and_b32 s56, s58, exec_lo
	s_cselect_b32 s57, s3, s1
	s_cselect_b32 s56, s2, s0
	v_readfirstlane_b32 s20, v4
	s_sub_nc_u64 s[56:57], s[56:57], s[20:21]
	s_delay_alu instid0(SALU_CYCLE_1) | instskip(SKIP_3) | instid1(SALU_CYCLE_1)
	s_sub_nc_u64 s[0:1], s[56:57], s[0:1]
	s_mov_b32 s56, s21
	s_wait_alu 0xfffe
	s_mov_b32 s57, s1
	s_cmp_lg_u64 s[56:57], 0
	s_cbranch_scc0 .LBB45_15
; %bb.6:                                ;   in Loop: Header=BB45_4 Depth=1
	s_cvt_f32_u32 s20, s54
	s_sub_nc_u64 s[60:61], 0, s[54:55]
	s_wait_alu 0xfffe
	s_delay_alu instid0(SALU_CYCLE_1) | instskip(SKIP_1) | instid1(SALU_CYCLE_2)
	s_fmamk_f32 s20, s77, 0x0, s20
	s_wait_alu 0xfffe
	v_s_rcp_f32 s20, s20
	s_delay_alu instid0(TRANS32_DEP_1) | instskip(SKIP_1) | instid1(SALU_CYCLE_2)
	s_mul_f32 s20, s20, 0x5f7ffffc
	s_wait_alu 0xfffe
	s_mul_f32 s56, s20, 0x2f800000
	s_delay_alu instid0(SALU_CYCLE_3) | instskip(NEXT) | instid1(SALU_CYCLE_3)
	s_trunc_f32 s56, s56
	s_fmamk_f32 s20, s56, 0xcf800000, s20
	s_cvt_u32_f32 s57, s56
	s_wait_alu 0xfffe
	s_delay_alu instid0(SALU_CYCLE_1) | instskip(NEXT) | instid1(SALU_CYCLE_3)
	s_cvt_u32_f32 s56, s20
	s_mul_u64 s[62:63], s[60:61], s[56:57]
	s_delay_alu instid0(SALU_CYCLE_1)
	s_mul_hi_u32 s65, s56, s63
	s_mul_i32 s64, s56, s63
	s_mul_hi_u32 s20, s56, s62
	s_mul_i32 s66, s57, s62
	s_wait_alu 0xfffe
	s_add_nc_u64 s[64:65], s[20:21], s[64:65]
	s_mul_hi_u32 s59, s57, s62
	s_mul_hi_u32 s67, s57, s63
	s_add_co_u32 s20, s64, s66
	s_wait_alu 0xfffe
	s_add_co_ci_u32 s20, s65, s59
	s_mul_i32 s62, s57, s63
	s_add_co_ci_u32 s63, s67, 0
	s_wait_alu 0xfffe
	s_add_nc_u64 s[62:63], s[20:21], s[62:63]
	s_delay_alu instid0(SALU_CYCLE_1) | instskip(SKIP_4) | instid1(SALU_CYCLE_1)
	s_add_co_u32 s56, s56, s62
	s_cselect_b32 s20, -1, 0
	s_wait_alu 0xfffe
	s_cmp_lg_u32 s20, 0
	s_add_co_ci_u32 s57, s57, s63
	s_mul_u64 s[60:61], s[60:61], s[56:57]
	s_wait_alu 0xfffe
	s_mul_hi_u32 s63, s56, s61
	s_mul_i32 s62, s56, s61
	s_mul_hi_u32 s20, s56, s60
	s_mul_i32 s64, s57, s60
	s_wait_alu 0xfffe
	s_add_nc_u64 s[62:63], s[20:21], s[62:63]
	s_mul_hi_u32 s59, s57, s60
	s_mul_hi_u32 s65, s57, s61
	s_add_co_u32 s20, s62, s64
	s_wait_alu 0xfffe
	s_add_co_ci_u32 s20, s63, s59
	s_mul_i32 s60, s57, s61
	s_add_co_ci_u32 s61, s65, 0
	s_wait_alu 0xfffe
	s_add_nc_u64 s[60:61], s[20:21], s[60:61]
	s_wait_alu 0xfffe
	s_add_co_u32 s56, s56, s60
	s_cselect_b32 s59, -1, 0
	s_mul_hi_u32 s20, s0, s56
	s_wait_alu 0xfffe
	s_cmp_lg_u32 s59, 0
	s_mul_hi_u32 s59, s1, s56
	s_add_co_ci_u32 s60, s57, s61
	s_mul_i32 s61, s1, s56
	s_wait_alu 0xfffe
	s_mul_hi_u32 s57, s0, s60
	s_mul_i32 s56, s0, s60
	s_mul_hi_u32 s62, s1, s60
	s_add_nc_u64 s[56:57], s[20:21], s[56:57]
	s_mul_i32 s60, s1, s60
	s_add_co_u32 s20, s56, s61
	s_add_co_ci_u32 s20, s57, s59
	s_add_co_ci_u32 s61, s62, 0
	s_wait_alu 0xfffe
	s_add_nc_u64 s[56:57], s[20:21], s[60:61]
	s_delay_alu instid0(SALU_CYCLE_1)
	s_mul_u64 s[60:61], s[54:55], s[56:57]
	s_add_nc_u64 s[62:63], s[56:57], 2
	s_wait_alu 0xfffe
	s_sub_co_u32 s20, s0, s60
	s_cselect_b32 s59, -1, 0
	s_wait_alu 0xfffe
	s_cmp_lg_u32 s59, 0
	s_sub_co_ci_u32 s1, s1, s61
	s_sub_co_u32 s59, s20, s54
	s_cselect_b32 s60, -1, 0
	s_wait_alu 0xfffe
	s_cmp_lg_u32 s60, 0
	s_sub_co_ci_u32 s60, s1, 0
	s_cmp_ge_u32 s59, s54
	s_cselect_b32 s59, -1, 0
	s_wait_alu 0xfffe
	s_cmp_eq_u32 s60, 0
	s_add_nc_u64 s[60:61], s[56:57], 1
	s_cselect_b32 s59, s59, -1
	s_wait_alu 0xfffe
	s_cmp_lg_u32 s59, 0
	s_cselect_b32 s59, s62, s60
	s_cselect_b32 s60, s63, s61
	s_cmp_ge_u32 s20, s54
	s_cselect_b32 s20, -1, 0
	s_cmp_eq_u32 s1, 0
	s_wait_alu 0xfffe
	s_cselect_b32 s1, s20, -1
	s_wait_alu 0xfffe
	s_cmp_lg_u32 s1, 0
	s_cselect_b32 s57, s60, s57
	s_cselect_b32 s56, s59, s56
	s_cbranch_execnz .LBB45_8
.LBB45_7:                               ;   in Loop: Header=BB45_4 Depth=1
	v_cvt_f32_u32_e32 v4, s54
	s_sub_co_i32 s20, 0, s54
	s_delay_alu instid0(VALU_DEP_1) | instskip(NEXT) | instid1(TRANS32_DEP_1)
	v_rcp_iflag_f32_e32 v4, v4
	v_mul_f32_e32 v4, 0x4f7ffffe, v4
	s_delay_alu instid0(VALU_DEP_1) | instskip(NEXT) | instid1(VALU_DEP_1)
	v_cvt_u32_f32_e32 v4, v4
	v_readfirstlane_b32 s1, v4
	s_wait_alu 0xfffe
	s_mul_i32 s20, s20, s1
	s_wait_alu 0xfffe
	s_mul_hi_u32 s20, s1, s20
	s_wait_alu 0xfffe
	s_add_co_i32 s1, s1, s20
	s_wait_alu 0xfffe
	s_mul_hi_u32 s1, s0, s1
	s_wait_alu 0xfffe
	s_mul_i32 s20, s1, s54
	s_wait_alu 0xfffe
	s_sub_co_i32 s0, s0, s20
	s_add_co_i32 s20, s1, 1
	s_wait_alu 0xfffe
	s_sub_co_i32 s56, s0, s54
	s_cmp_ge_u32 s0, s54
	s_cselect_b32 s1, s20, s1
	s_cselect_b32 s0, s56, s0
	s_wait_alu 0xfffe
	s_add_co_i32 s20, s1, 1
	s_cmp_ge_u32 s0, s54
	s_wait_alu 0xfffe
	s_cselect_b32 s20, s20, s1
	s_wait_alu 0xfffe
	s_mov_b64 s[56:57], s[20:21]
.LBB45_8:                               ;   in Loop: Header=BB45_4 Depth=1
	s_and_b32 s0, s58, exec_lo
	s_cselect_b32 s20, 2, 1
	s_wait_alu 0xfffe
	s_add_nc_u64 s[0:1], s[20:21], s[56:57]
	s_mul_u64 s[56:57], s[18:19], s[12:13]
	s_wait_alu 0xfffe
	v_cmp_lt_u64_e64 s58, s[0:1], 2
	s_mov_b32 s20, -1
	s_and_b32 vcc_lo, exec_lo, s58
	s_mov_b64 s[58:59], s[26:27]
	s_wait_alu 0xfffe
	s_cbranch_vccnz .LBB45_12
; %bb.9:                                ;   in Loop: Header=BB45_4 Depth=1
	s_and_b32 s58, s0, -2
	s_mov_b32 s59, s1
	s_lshl_b64 s[66:67], s[54:55], 1
	s_mov_b32 s60, s18
	s_mov_b32 s61, s19
	s_add_nc_u64 s[62:63], s[50:51], s[54:55]
	s_mov_b32 s64, s73
	s_mov_b32 s65, s74
	;; [unrolled: 1-line block ×4, first 2 shown]
	s_wait_alu 0xfffe
	s_mov_b64 s[70:71], s[58:59]
.LBB45_10:                              ;   Parent Loop BB45_4 Depth=1
                                        ; =>  This Inner Loop Header: Depth=2
	s_mov_b32 s20, s64
	s_mov_b32 s78, s62
	s_mov_b32 s79, s21
	s_wait_alu 0xfffe
	s_mul_u64 s[88:89], s[20:21], s[34:35]
	s_mul_u64 s[78:79], s[78:79], s[36:37]
	s_add_co_i32 s20, s89, s64
	s_wait_alu 0xfffe
	s_add_co_i32 s78, s79, s62
	s_lshr_b32 s82, s20, s16
	s_mov_b32 s83, s21
	s_wait_alu 0xfffe
	s_lshr_b32 s84, s78, s17
	s_mul_i32 s20, s82, s33
	s_mov_b32 s85, s21
	s_mul_i32 s80, s84, s72
	s_mul_u64 s[82:83], s[22:23], s[82:83]
	s_wait_alu 0xfffe
	s_sub_co_i32 s20, s64, s20
	s_mov_b32 s81, s21
	s_mul_u64 s[78:79], s[10:11], s[84:85]
	s_sub_co_i32 s80, s62, s80
	s_lshl_b64 s[82:83], s[82:83], 1
	s_wait_alu 0xfffe
	s_mul_u64 s[84:85], s[38:39], s[20:21]
	s_lshl_b64 s[78:79], s[78:79], 1
	s_mul_u64 s[80:81], s[40:41], s[80:81]
	s_add_nc_u64 s[82:83], s[8:9], s[82:83]
	s_lshl_b64 s[84:85], s[84:85], 1
	s_lshl_b64 s[86:87], s[56:57], 1
	s_wait_alu 0xfffe
	s_add_nc_u64 s[78:79], s[8:9], s[78:79]
	s_lshl_b64 s[80:81], s[80:81], 1
	s_add_nc_u64 s[82:83], s[82:83], s[84:85]
	s_wait_alu 0xfffe
	s_add_nc_u64 s[78:79], s[78:79], s[80:81]
	s_add_nc_u64 s[80:81], s[82:83], s[86:87]
	s_wait_alu 0xfffe
	s_add_nc_u64 s[78:79], s[78:79], s[86:87]
	v_add_co_u32 v4, vcc_lo, s80, v0
	s_wait_alu 0xfffd
	v_add_co_ci_u32_e64 v5, null, s81, v1, vcc_lo
	s_wait_alu 0xfffe
	v_add_co_u32 v6, vcc_lo, s78, v0
	s_wait_alu 0xfffd
	v_add_co_ci_u32_e64 v7, null, s79, v1, vcc_lo
	s_clause 0x1
	global_load_u16 v8, v[4:5], off
	global_load_u16 v6, v[6:7], off
	s_mul_u64 s[80:81], s[64:65], s[42:43]
	s_mul_u64 s[78:79], s[62:63], s[44:45]
	s_wait_alu 0xfffe
	s_add_nc_u64 s[80:81], s[80:81], s[18:19]
	s_add_nc_u64 s[78:79], s[78:79], s[60:61]
	s_wait_alu 0xfffe
	s_mul_u64 s[80:81], s[80:81], s[46:47]
	s_mul_u64 s[78:79], s[78:79], s[48:49]
	s_wait_alu 0xfffe
	s_lshl_b64 s[80:81], s[80:81], 1
	s_lshl_b64 s[78:79], s[78:79], 1
	s_wait_alu 0xfffe
	v_add_co_u32 v4, vcc_lo, v2, s80
	s_wait_alu 0xfffd
	v_add_co_ci_u32_e64 v5, null, s81, v3, vcc_lo
	s_add_nc_u64 s[70:71], s[70:71], -2
	s_add_nc_u64 s[62:63], s[62:63], s[68:69]
	s_add_nc_u64 s[64:65], s[64:65], s[66:67]
	s_cmp_lg_u64 s[70:71], 0
	s_wait_loadcnt 0x1
	v_lshlrev_b32_e32 v8, 16, v8
	s_wait_loadcnt 0x0
	v_lshlrev_b32_e32 v9, 16, v6
	v_add_co_u32 v6, vcc_lo, v2, s78
	s_wait_alu 0xfffd
	v_add_co_ci_u32_e64 v7, null, s79, v3, vcc_lo
	v_cvt_f16_f32_e32 v8, v8
	v_cvt_f16_f32_e32 v9, v9
	s_clause 0x1
	global_store_b16 v[4:5], v8, off
	global_store_b16 v[6:7], v9, off
	s_cbranch_scc1 .LBB45_10
; %bb.11:                               ;   in Loop: Header=BB45_4 Depth=1
	s_mul_u64 s[60:61], s[58:59], s[54:55]
	s_cmp_lg_u64 s[0:1], s[58:59]
	s_wait_alu 0xfffe
	s_add_nc_u64 s[58:59], s[60:61], s[26:27]
	s_cselect_b32 s20, -1, 0
.LBB45_12:                              ;   in Loop: Header=BB45_4 Depth=1
	s_wait_alu 0xfffe
	s_and_b32 vcc_lo, exec_lo, s20
	s_wait_alu 0xfffe
	s_cbranch_vccz .LBB45_3
; %bb.13:                               ;   in Loop: Header=BB45_4 Depth=1
	s_mul_u64 s[0:1], s[6:7], s[58:59]
	s_mul_u64 s[60:61], s[52:53], s[54:55]
	s_wait_alu 0xfffe
	s_add_nc_u64 s[0:1], s[18:19], s[0:1]
	s_wait_alu 0xfffe
	v_mad_co_u64_u32 v[4:5], null, s4, s0, v[2:3]
	s_mul_i32 s0, s5, s0
	s_mul_i32 s1, s4, s1
	s_wait_alu 0xfffe
	v_add3_u32 v5, s1, s0, v5
.LBB45_14:                              ;   Parent Loop BB45_4 Depth=1
                                        ; =>  This Inner Loop Header: Depth=2
	s_mov_b32 s20, s58
	s_mov_b32 s1, s21
	s_wait_alu 0xfffe
	s_mul_u64 s[64:65], s[28:29], s[20:21]
	s_lshl_b64 s[62:63], s[56:57], 1
	s_add_co_i32 s0, s58, s65
	s_wait_alu 0xfffe
	s_lshr_b32 s0, s0, s17
	s_wait_alu 0xfffe
	s_mul_i32 s20, s76, s0
	s_mul_u64 s[0:1], s[22:23], s[0:1]
	s_wait_alu 0xfffe
	s_add_co_i32 s20, s58, s20
	s_lshl_b64 s[0:1], s[0:1], 1
	s_wait_alu 0xfffe
	s_mul_u64 s[64:65], s[14:15], s[20:21]
	s_add_nc_u64 s[0:1], s[8:9], s[0:1]
	s_lshl_b64 s[64:65], s[64:65], 1
	s_add_nc_u64 s[58:59], s[58:59], s[54:55]
	s_wait_alu 0xfffe
	s_add_nc_u64 s[0:1], s[0:1], s[64:65]
	s_wait_alu 0xfffe
	;; [unrolled: 2-line block ×3, first 2 shown]
	v_add_co_u32 v6, vcc_lo, s0, v0
	s_wait_alu 0xfffd
	v_add_co_ci_u32_e64 v7, null, s1, v1, vcc_lo
	v_cmp_ge_i64_e64 s0, s[58:59], s[2:3]
	global_load_u16 v6, v[6:7], off
	s_and_b32 vcc_lo, exec_lo, s0
	s_wait_loadcnt 0x0
	v_lshlrev_b32_e32 v6, 16, v6
	s_delay_alu instid0(VALU_DEP_1)
	v_cvt_f16_f32_e32 v6, v6
	global_store_b16 v[4:5], v6, off
	v_add_co_u32 v4, s0, v4, s60
	s_wait_alu 0xf1ff
	v_add_co_ci_u32_e64 v5, null, s61, v5, s0
	s_wait_alu 0xfffe
	s_cbranch_vccz .LBB45_14
	s_branch .LBB45_3
.LBB45_15:                              ;   in Loop: Header=BB45_4 Depth=1
                                        ; implicit-def: $sgpr56_sgpr57
	s_branch .LBB45_7
.LBB45_16:
	s_endpgm
	.section	.rodata,"a",@progbits
	.p2align	6, 0x0
	.amdhsa_kernel _ZL13convert_unaryI14__hip_bfloat166__halfEvPKvPT0_lll15HIP_vector_typeIjLj3EElll
		.amdhsa_group_segment_fixed_size 0
		.amdhsa_private_segment_fixed_size 0
		.amdhsa_kernarg_size 336
		.amdhsa_user_sgpr_count 2
		.amdhsa_user_sgpr_dispatch_ptr 0
		.amdhsa_user_sgpr_queue_ptr 0
		.amdhsa_user_sgpr_kernarg_segment_ptr 1
		.amdhsa_user_sgpr_dispatch_id 0
		.amdhsa_user_sgpr_private_segment_size 0
		.amdhsa_wavefront_size32 1
		.amdhsa_uses_dynamic_stack 0
		.amdhsa_enable_private_segment 0
		.amdhsa_system_sgpr_workgroup_id_x 1
		.amdhsa_system_sgpr_workgroup_id_y 1
		.amdhsa_system_sgpr_workgroup_id_z 1
		.amdhsa_system_sgpr_workgroup_info 0
		.amdhsa_system_vgpr_workitem_id 0
		.amdhsa_next_free_vgpr 10
		.amdhsa_next_free_sgpr 90
		.amdhsa_reserve_vcc 1
		.amdhsa_float_round_mode_32 0
		.amdhsa_float_round_mode_16_64 0
		.amdhsa_float_denorm_mode_32 3
		.amdhsa_float_denorm_mode_16_64 3
		.amdhsa_fp16_overflow 0
		.amdhsa_workgroup_processor_mode 1
		.amdhsa_memory_ordered 1
		.amdhsa_forward_progress 1
		.amdhsa_inst_pref_size 15
		.amdhsa_round_robin_scheduling 0
		.amdhsa_exception_fp_ieee_invalid_op 0
		.amdhsa_exception_fp_denorm_src 0
		.amdhsa_exception_fp_ieee_div_zero 0
		.amdhsa_exception_fp_ieee_overflow 0
		.amdhsa_exception_fp_ieee_underflow 0
		.amdhsa_exception_fp_ieee_inexact 0
		.amdhsa_exception_int_div_zero 0
	.end_amdhsa_kernel
	.section	.text._ZL13convert_unaryI14__hip_bfloat166__halfEvPKvPT0_lll15HIP_vector_typeIjLj3EElll,"axG",@progbits,_ZL13convert_unaryI14__hip_bfloat166__halfEvPKvPT0_lll15HIP_vector_typeIjLj3EElll,comdat
.Lfunc_end45:
	.size	_ZL13convert_unaryI14__hip_bfloat166__halfEvPKvPT0_lll15HIP_vector_typeIjLj3EElll, .Lfunc_end45-_ZL13convert_unaryI14__hip_bfloat166__halfEvPKvPT0_lll15HIP_vector_typeIjLj3EElll
                                        ; -- End function
	.set _ZL13convert_unaryI14__hip_bfloat166__halfEvPKvPT0_lll15HIP_vector_typeIjLj3EElll.num_vgpr, 10
	.set _ZL13convert_unaryI14__hip_bfloat166__halfEvPKvPT0_lll15HIP_vector_typeIjLj3EElll.num_agpr, 0
	.set _ZL13convert_unaryI14__hip_bfloat166__halfEvPKvPT0_lll15HIP_vector_typeIjLj3EElll.numbered_sgpr, 90
	.set _ZL13convert_unaryI14__hip_bfloat166__halfEvPKvPT0_lll15HIP_vector_typeIjLj3EElll.num_named_barrier, 0
	.set _ZL13convert_unaryI14__hip_bfloat166__halfEvPKvPT0_lll15HIP_vector_typeIjLj3EElll.private_seg_size, 0
	.set _ZL13convert_unaryI14__hip_bfloat166__halfEvPKvPT0_lll15HIP_vector_typeIjLj3EElll.uses_vcc, 1
	.set _ZL13convert_unaryI14__hip_bfloat166__halfEvPKvPT0_lll15HIP_vector_typeIjLj3EElll.uses_flat_scratch, 0
	.set _ZL13convert_unaryI14__hip_bfloat166__halfEvPKvPT0_lll15HIP_vector_typeIjLj3EElll.has_dyn_sized_stack, 0
	.set _ZL13convert_unaryI14__hip_bfloat166__halfEvPKvPT0_lll15HIP_vector_typeIjLj3EElll.has_recursion, 0
	.set _ZL13convert_unaryI14__hip_bfloat166__halfEvPKvPT0_lll15HIP_vector_typeIjLj3EElll.has_indirect_call, 0
	.section	.AMDGPU.csdata,"",@progbits
; Kernel info:
; codeLenInByte = 1872
; TotalNumSgprs: 92
; NumVgprs: 10
; ScratchSize: 0
; MemoryBound: 0
; FloatMode: 240
; IeeeMode: 1
; LDSByteSize: 0 bytes/workgroup (compile time only)
; SGPRBlocks: 0
; VGPRBlocks: 1
; NumSGPRsForWavesPerEU: 92
; NumVGPRsForWavesPerEU: 10
; Occupancy: 16
; WaveLimiterHint : 0
; COMPUTE_PGM_RSRC2:SCRATCH_EN: 0
; COMPUTE_PGM_RSRC2:USER_SGPR: 2
; COMPUTE_PGM_RSRC2:TRAP_HANDLER: 0
; COMPUTE_PGM_RSRC2:TGID_X_EN: 1
; COMPUTE_PGM_RSRC2:TGID_Y_EN: 1
; COMPUTE_PGM_RSRC2:TGID_Z_EN: 1
; COMPUTE_PGM_RSRC2:TIDIG_COMP_CNT: 0
	.section	.text._ZL13convert_unaryIf14__hip_bfloat16EvPKvPT0_lll15HIP_vector_typeIjLj3EElll,"axG",@progbits,_ZL13convert_unaryIf14__hip_bfloat16EvPKvPT0_lll15HIP_vector_typeIjLj3EElll,comdat
	.globl	_ZL13convert_unaryIf14__hip_bfloat16EvPKvPT0_lll15HIP_vector_typeIjLj3EElll ; -- Begin function _ZL13convert_unaryIf14__hip_bfloat16EvPKvPT0_lll15HIP_vector_typeIjLj3EElll
	.p2align	8
	.type	_ZL13convert_unaryIf14__hip_bfloat16EvPKvPT0_lll15HIP_vector_typeIjLj3EElll,@function
_ZL13convert_unaryIf14__hip_bfloat16EvPKvPT0_lll15HIP_vector_typeIjLj3EElll: ; @_ZL13convert_unaryIf14__hip_bfloat16EvPKvPT0_lll15HIP_vector_typeIjLj3EElll
; %bb.0:
	s_clause 0x1
	s_load_b32 s2, s[0:1], 0x5c
	s_load_b128 s[4:7], s[0:1], 0x10
	v_mov_b32_e32 v1, 0
	s_wait_kmcnt 0x0
	s_and_b32 s2, s2, 0xffff
	s_delay_alu instid0(VALU_DEP_1) | instid1(SALU_CYCLE_1)
	v_mad_co_u64_u32 v[0:1], null, s2, ttmp9, v[0:1]
	s_mov_b32 s2, exec_lo
	v_cmpx_gt_i64_e64 s[4:5], v[0:1]
	s_cbranch_execz .LBB46_7
; %bb.1:
	s_load_b64 s[2:3], s[0:1], 0x20
	s_mov_b32 s21, 0
	s_and_b32 s20, ttmp7, 0xffff
	s_delay_alu instid0(SALU_CYCLE_1)
	v_cmp_le_i64_e64 s8, s[6:7], s[20:21]
	s_and_b32 vcc_lo, exec_lo, s8
	s_cbranch_vccnz .LBB46_7
; %bb.2:
	s_add_nc_u64 s[22:23], s[0:1], 0x50
	s_clause 0x1
	s_load_b96 s[16:18], s[0:1], 0x28
	s_load_b128 s[8:11], s[0:1], 0x0
	s_load_b32 s24, s[22:23], 0x4
	s_clause 0x1
	s_load_b128 s[12:15], s[0:1], 0x38
	s_load_b64 s[26:27], s[0:1], 0x48
	s_lshr_b32 s28, ttmp7, 16
	s_mov_b32 s29, s21
	v_lshlrev_b64_e32 v[2:3], 1, v[0:1]
	s_mul_u64 s[0:1], s[6:7], s[28:29]
	s_mov_b32 s25, s21
	s_wait_alu 0xfffe
	s_add_nc_u64 s[0:1], s[0:1], s[20:21]
	v_lshlrev_b64_e32 v[0:1], 2, v[0:1]
	s_wait_alu 0xfffe
	s_mul_u64 s[0:1], s[4:5], s[0:1]
	s_mul_u64 s[34:35], s[6:7], s[4:5]
	s_wait_alu 0xfffe
	s_lshl_b64 s[0:1], s[0:1], 1
	s_mov_b32 s31, s21
	s_wait_kmcnt 0x0
	s_mov_b32 s30, s16
	s_wait_alu 0xfffe
	s_add_nc_u64 s[0:1], s[10:11], s[0:1]
	s_mul_u64 s[4:5], s[4:5], s[24:25]
	s_wait_alu 0xfffe
	v_add_co_u32 v2, vcc_lo, s0, v2
	s_delay_alu instid0(VALU_DEP_1)
	v_add_co_ci_u32_e64 v3, null, s1, v3, vcc_lo
	v_cmp_gt_i64_e64 s1, s[2:3], s[28:29]
	s_lshl_b64 s[4:5], s[4:5], 1
	s_lshl_b64 s[10:11], s[34:35], 1
	s_sub_co_i32 s16, 0, s18
	s_mov_b64 s[18:19], s[20:21]
	s_branch .LBB46_4
.LBB46_3:                               ;   in Loop: Header=BB46_4 Depth=1
	s_add_nc_u64 s[18:19], s[18:19], s[24:25]
	v_add_co_u32 v2, vcc_lo, v2, s4
	s_wait_alu 0xfffe
	v_cmp_ge_i64_e64 s0, s[18:19], s[6:7]
	s_wait_alu 0xfffd
	v_add_co_ci_u32_e64 v3, null, s5, v3, vcc_lo
	s_and_b32 vcc_lo, exec_lo, s0
	s_wait_alu 0xfffe
	s_cbranch_vccnz .LBB46_7
.LBB46_4:                               ; =>This Loop Header: Depth=1
                                        ;     Child Loop BB46_6 Depth 2
	s_and_not1_b32 vcc_lo, exec_lo, s1
	s_wait_alu 0xfffe
	s_cbranch_vccnz .LBB46_3
; %bb.5:                                ;   in Loop: Header=BB46_4 Depth=1
	s_load_b32 s34, s[22:23], 0x8
	v_dual_mov_b32 v5, v3 :: v_dual_mov_b32 v4, v2
	s_mul_u64 s[36:37], s[18:19], s[12:13]
	s_mov_b32 s35, s21
	s_lshl_b64 s[36:37], s[36:37], 2
	s_mov_b64 s[40:41], s[28:29]
	s_wait_kmcnt 0x0
	s_mul_u64 s[38:39], s[10:11], s[34:35]
.LBB46_6:                               ;   Parent Loop BB46_4 Depth=1
                                        ; =>  This Inner Loop Header: Depth=2
	s_wait_alu 0xfffe
	s_mov_b32 s20, s40
	s_mov_b32 s43, s21
	s_wait_alu 0xfffe
	s_mul_u64 s[44:45], s[30:31], s[20:21]
	s_delay_alu instid0(SALU_CYCLE_1)
	s_add_co_i32 s0, s40, s45
	s_wait_alu 0xfffe
	s_lshr_b32 s42, s0, s17
	s_wait_alu 0xfffe
	s_mul_i32 s0, s16, s42
	s_mul_u64 s[42:43], s[26:27], s[42:43]
	s_wait_alu 0xfffe
	s_add_co_i32 s20, s40, s0
	s_lshl_b64 s[42:43], s[42:43], 2
	s_wait_alu 0xfffe
	s_mul_u64 s[44:45], s[14:15], s[20:21]
	s_add_nc_u64 s[42:43], s[8:9], s[42:43]
	s_lshl_b64 s[44:45], s[44:45], 2
	s_add_nc_u64 s[40:41], s[40:41], s[34:35]
	s_wait_alu 0xfffe
	s_add_nc_u64 s[42:43], s[42:43], s[44:45]
	v_cmp_ge_i64_e64 s0, s[40:41], s[2:3]
	s_wait_alu 0xfffe
	s_add_nc_u64 s[42:43], s[42:43], s[36:37]
	s_wait_alu 0xfffe
	v_add_co_u32 v6, vcc_lo, s42, v0
	s_wait_alu 0xfffd
	v_add_co_ci_u32_e64 v7, null, s43, v1, vcc_lo
	s_and_b32 vcc_lo, exec_lo, s0
	global_load_b32 v6, v[6:7], off
	s_wait_loadcnt 0x0
	v_bfe_u32 v7, v6, 16, 1
	v_or_b32_e32 v8, 0x400000, v6
	v_cmp_u_f32_e64 s0, v6, v6
	s_delay_alu instid0(VALU_DEP_3) | instskip(SKIP_1) | instid1(VALU_DEP_1)
	v_add3_u32 v7, v7, v6, 0x7fff
	s_wait_alu 0xf1ff
	v_cndmask_b32_e64 v6, v7, v8, s0
	global_store_d16_hi_b16 v[4:5], v6, off
	v_add_co_u32 v4, s0, v4, s38
	s_wait_alu 0xf1ff
	v_add_co_ci_u32_e64 v5, null, s39, v5, s0
	s_wait_alu 0xfffe
	s_cbranch_vccz .LBB46_6
	s_branch .LBB46_3
.LBB46_7:
	s_endpgm
	.section	.rodata,"a",@progbits
	.p2align	6, 0x0
	.amdhsa_kernel _ZL13convert_unaryIf14__hip_bfloat16EvPKvPT0_lll15HIP_vector_typeIjLj3EElll
		.amdhsa_group_segment_fixed_size 0
		.amdhsa_private_segment_fixed_size 0
		.amdhsa_kernarg_size 336
		.amdhsa_user_sgpr_count 2
		.amdhsa_user_sgpr_dispatch_ptr 0
		.amdhsa_user_sgpr_queue_ptr 0
		.amdhsa_user_sgpr_kernarg_segment_ptr 1
		.amdhsa_user_sgpr_dispatch_id 0
		.amdhsa_user_sgpr_private_segment_size 0
		.amdhsa_wavefront_size32 1
		.amdhsa_uses_dynamic_stack 0
		.amdhsa_enable_private_segment 0
		.amdhsa_system_sgpr_workgroup_id_x 1
		.amdhsa_system_sgpr_workgroup_id_y 1
		.amdhsa_system_sgpr_workgroup_id_z 1
		.amdhsa_system_sgpr_workgroup_info 0
		.amdhsa_system_vgpr_workitem_id 0
		.amdhsa_next_free_vgpr 9
		.amdhsa_next_free_sgpr 46
		.amdhsa_reserve_vcc 1
		.amdhsa_float_round_mode_32 0
		.amdhsa_float_round_mode_16_64 0
		.amdhsa_float_denorm_mode_32 3
		.amdhsa_float_denorm_mode_16_64 3
		.amdhsa_fp16_overflow 0
		.amdhsa_workgroup_processor_mode 1
		.amdhsa_memory_ordered 1
		.amdhsa_forward_progress 1
		.amdhsa_inst_pref_size 5
		.amdhsa_round_robin_scheduling 0
		.amdhsa_exception_fp_ieee_invalid_op 0
		.amdhsa_exception_fp_denorm_src 0
		.amdhsa_exception_fp_ieee_div_zero 0
		.amdhsa_exception_fp_ieee_overflow 0
		.amdhsa_exception_fp_ieee_underflow 0
		.amdhsa_exception_fp_ieee_inexact 0
		.amdhsa_exception_int_div_zero 0
	.end_amdhsa_kernel
	.section	.text._ZL13convert_unaryIf14__hip_bfloat16EvPKvPT0_lll15HIP_vector_typeIjLj3EElll,"axG",@progbits,_ZL13convert_unaryIf14__hip_bfloat16EvPKvPT0_lll15HIP_vector_typeIjLj3EElll,comdat
.Lfunc_end46:
	.size	_ZL13convert_unaryIf14__hip_bfloat16EvPKvPT0_lll15HIP_vector_typeIjLj3EElll, .Lfunc_end46-_ZL13convert_unaryIf14__hip_bfloat16EvPKvPT0_lll15HIP_vector_typeIjLj3EElll
                                        ; -- End function
	.set _ZL13convert_unaryIf14__hip_bfloat16EvPKvPT0_lll15HIP_vector_typeIjLj3EElll.num_vgpr, 9
	.set _ZL13convert_unaryIf14__hip_bfloat16EvPKvPT0_lll15HIP_vector_typeIjLj3EElll.num_agpr, 0
	.set _ZL13convert_unaryIf14__hip_bfloat16EvPKvPT0_lll15HIP_vector_typeIjLj3EElll.numbered_sgpr, 46
	.set _ZL13convert_unaryIf14__hip_bfloat16EvPKvPT0_lll15HIP_vector_typeIjLj3EElll.num_named_barrier, 0
	.set _ZL13convert_unaryIf14__hip_bfloat16EvPKvPT0_lll15HIP_vector_typeIjLj3EElll.private_seg_size, 0
	.set _ZL13convert_unaryIf14__hip_bfloat16EvPKvPT0_lll15HIP_vector_typeIjLj3EElll.uses_vcc, 1
	.set _ZL13convert_unaryIf14__hip_bfloat16EvPKvPT0_lll15HIP_vector_typeIjLj3EElll.uses_flat_scratch, 0
	.set _ZL13convert_unaryIf14__hip_bfloat16EvPKvPT0_lll15HIP_vector_typeIjLj3EElll.has_dyn_sized_stack, 0
	.set _ZL13convert_unaryIf14__hip_bfloat16EvPKvPT0_lll15HIP_vector_typeIjLj3EElll.has_recursion, 0
	.set _ZL13convert_unaryIf14__hip_bfloat16EvPKvPT0_lll15HIP_vector_typeIjLj3EElll.has_indirect_call, 0
	.section	.AMDGPU.csdata,"",@progbits
; Kernel info:
; codeLenInByte = 636
; TotalNumSgprs: 48
; NumVgprs: 9
; ScratchSize: 0
; MemoryBound: 0
; FloatMode: 240
; IeeeMode: 1
; LDSByteSize: 0 bytes/workgroup (compile time only)
; SGPRBlocks: 0
; VGPRBlocks: 1
; NumSGPRsForWavesPerEU: 48
; NumVGPRsForWavesPerEU: 9
; Occupancy: 16
; WaveLimiterHint : 0
; COMPUTE_PGM_RSRC2:SCRATCH_EN: 0
; COMPUTE_PGM_RSRC2:USER_SGPR: 2
; COMPUTE_PGM_RSRC2:TRAP_HANDLER: 0
; COMPUTE_PGM_RSRC2:TGID_X_EN: 1
; COMPUTE_PGM_RSRC2:TGID_Y_EN: 1
; COMPUTE_PGM_RSRC2:TGID_Z_EN: 1
; COMPUTE_PGM_RSRC2:TIDIG_COMP_CNT: 0
	.section	.text._ZL16dequantize_blockILi128ELi1EXadL_ZL15dequantize_q1_0PKvliR15HIP_vector_typeIfLj2EEEE14__hip_bfloat16EvS1_PT2_lllS2_IjLj3EElll,"axG",@progbits,_ZL16dequantize_blockILi128ELi1EXadL_ZL15dequantize_q1_0PKvliR15HIP_vector_typeIfLj2EEEE14__hip_bfloat16EvS1_PT2_lllS2_IjLj3EElll,comdat
	.globl	_ZL16dequantize_blockILi128ELi1EXadL_ZL15dequantize_q1_0PKvliR15HIP_vector_typeIfLj2EEEE14__hip_bfloat16EvS1_PT2_lllS2_IjLj3EElll ; -- Begin function _ZL16dequantize_blockILi128ELi1EXadL_ZL15dequantize_q1_0PKvliR15HIP_vector_typeIfLj2EEEE14__hip_bfloat16EvS1_PT2_lllS2_IjLj3EElll
	.p2align	8
	.type	_ZL16dequantize_blockILi128ELi1EXadL_ZL15dequantize_q1_0PKvliR15HIP_vector_typeIfLj2EEEE14__hip_bfloat16EvS1_PT2_lllS2_IjLj3EElll,@function
_ZL16dequantize_blockILi128ELi1EXadL_ZL15dequantize_q1_0PKvliR15HIP_vector_typeIfLj2EEEE14__hip_bfloat16EvS1_PT2_lllS2_IjLj3EElll: ; @_ZL16dequantize_blockILi128ELi1EXadL_ZL15dequantize_q1_0PKvliR15HIP_vector_typeIfLj2EEEE14__hip_bfloat16EvS1_PT2_lllS2_IjLj3EElll
; %bb.0:
	s_clause 0x1
	s_load_b32 s19, s[0:1], 0x5c
	s_load_b128 s[4:7], s[0:1], 0x10
	v_mov_b32_e32 v1, 0
	s_wait_kmcnt 0x0
	s_and_b32 s2, s19, 0xffff
	s_delay_alu instid0(VALU_DEP_1) | instid1(SALU_CYCLE_1)
	v_mad_co_u64_u32 v[1:2], null, s2, ttmp9, v[0:1]
	s_mov_b32 s2, exec_lo
	v_lshlrev_b64_e32 v[3:4], 1, v[1:2]
	s_delay_alu instid0(VALU_DEP_1)
	v_cmpx_gt_i64_e64 s[4:5], v[3:4]
	s_cbranch_execz .LBB47_7
; %bb.1:
	s_load_b64 s[2:3], s[0:1], 0x20
	s_mov_b32 s21, 0
	s_and_b32 s20, ttmp7, 0xffff
	s_delay_alu instid0(SALU_CYCLE_1)
	v_cmp_le_i64_e64 s8, s[6:7], s[20:21]
	s_and_b32 vcc_lo, exec_lo, s8
	s_cbranch_vccnz .LBB47_7
; %bb.2:
	s_mul_i32 s19, ttmp9, s19
	v_lshrrev_b64 v[1:2], 6, v[1:2]
	v_add_nc_u16 v4, s19, v0
	s_clause 0x1
	s_load_b96 s[16:18], s[0:1], 0x28
	s_load_b128 s[8:11], s[0:1], 0x0
	s_lshr_b32 s26, ttmp7, 16
	s_mov_b32 s27, s21
	s_add_nc_u64 s[22:23], s[0:1], 0x50
	s_clause 0x1
	s_load_b128 s[12:15], s[0:1], 0x38
	s_load_b64 s[24:25], s[0:1], 0x48
	s_mul_u64 s[0:1], s[6:7], s[26:27]
	v_and_b32_e32 v6, 63, v4
	s_wait_alu 0xfffe
	s_add_nc_u64 s[0:1], s[0:1], s[20:21]
	v_lshlrev_b64_e32 v[4:5], 8, v[1:2]
	s_load_b32 s30, s[22:23], 0x4
	s_mul_u64 s[0:1], s[4:5], s[0:1]
	v_bfe_u32 v0, v3, 3, 4
	s_wait_alu 0xfffe
	s_lshl_b64 s[0:1], s[0:1], 1
	v_and_b32_e32 v7, 6, v3
	v_lshlrev_b32_e32 v3, 2, v6
	s_wait_alu 0xfffe
	v_add_co_u32 v4, vcc_lo, s0, v4
	s_delay_alu instid0(VALU_DEP_1)
	v_add_co_ci_u32_e64 v5, null, s1, v5, vcc_lo
	s_mov_b32 s31, s21
	v_add_co_u32 v3, vcc_lo, v4, v3
	s_wait_alu 0xfffd
	v_add_co_ci_u32_e64 v4, null, 0, v5, vcc_lo
	s_wait_kmcnt 0x0
	s_mov_b32 s28, s16
	v_add_co_u32 v3, vcc_lo, s10, v3
	s_wait_alu 0xfffd
	v_add_co_ci_u32_e64 v4, null, s11, v4, vcc_lo
	s_mul_u64 s[0:1], s[4:5], s[30:31]
	v_add_co_u32 v3, vcc_lo, v3, 2
	v_cmp_gt_i64_e64 s16, s[2:3], s[26:27]
	v_or_b32_e32 v8, 1, v7
	s_wait_alu 0xfffd
	v_add_co_ci_u32_e64 v4, null, 0, v4, vcc_lo
	s_wait_alu 0xfffe
	s_lshl_b64 s[10:11], s[0:1], 1
	s_mul_u64 s[0:1], s[6:7], s[4:5]
	s_mov_b32 s29, s21
	s_wait_alu 0xfffe
	s_lshl_b64 s[4:5], s[0:1], 1
	s_sub_co_i32 s33, 0, s18
	s_mov_b64 s[18:19], s[20:21]
	s_branch .LBB47_4
.LBB47_3:                               ;   in Loop: Header=BB47_4 Depth=1
	s_add_nc_u64 s[18:19], s[18:19], s[30:31]
	v_add_co_u32 v3, vcc_lo, v3, s10
	s_wait_alu 0xfffe
	v_cmp_ge_i64_e64 s0, s[18:19], s[6:7]
	s_wait_alu 0xfffd
	v_add_co_ci_u32_e64 v4, null, s11, v4, vcc_lo
	s_and_b32 vcc_lo, exec_lo, s0
	s_wait_alu 0xfffe
	s_cbranch_vccnz .LBB47_7
.LBB47_4:                               ; =>This Loop Header: Depth=1
                                        ;     Child Loop BB47_6 Depth 2
	s_and_not1_b32 vcc_lo, exec_lo, s16
	s_wait_alu 0xfffe
	s_cbranch_vccnz .LBB47_3
; %bb.5:                                ;   in Loop: Header=BB47_4 Depth=1
	s_load_b32 s34, s[22:23], 0x8
	v_dual_mov_b32 v6, v4 :: v_dual_mov_b32 v5, v3
	s_mul_u64 s[0:1], s[18:19], s[12:13]
	s_mov_b32 s35, s21
	s_wait_alu 0xfffe
	s_mul_u64 s[36:37], s[0:1], 18
	s_mov_b64 s[40:41], s[26:27]
	s_wait_kmcnt 0x0
	s_mul_u64 s[38:39], s[4:5], s[34:35]
.LBB47_6:                               ;   Parent Loop BB47_4 Depth=1
                                        ; =>  This Inner Loop Header: Depth=2
	s_wait_alu 0xfffe
	s_mov_b32 s20, s40
	s_mov_b32 s1, s21
	s_wait_alu 0xfffe
	s_mul_u64 s[42:43], s[28:29], s[20:21]
	s_delay_alu instid0(SALU_CYCLE_1)
	s_add_co_i32 s0, s40, s43
	s_wait_alu 0xfffe
	s_lshr_b32 s0, s0, s17
	s_wait_alu 0xfffe
	s_mul_i32 s20, s33, s0
	s_mul_u64 s[0:1], s[24:25], s[0:1]
	s_wait_alu 0xfffe
	s_add_co_i32 s20, s40, s20
	s_mul_u64 s[0:1], s[0:1], 18
	s_wait_alu 0xfffe
	s_mul_u64 s[42:43], s[14:15], s[20:21]
	s_add_nc_u64 s[0:1], s[8:9], s[0:1]
	s_mul_u64 s[42:43], s[42:43], 18
	s_add_nc_u64 s[40:41], s[40:41], s[34:35]
	s_wait_alu 0xfffe
	s_add_nc_u64 s[0:1], s[0:1], s[42:43]
	s_wait_alu 0xfffe
	;; [unrolled: 2-line block ×3, first 2 shown]
	v_mad_co_u64_u32 v[9:10], null, v1, 18, s[0:1]
	v_cmp_ge_i64_e64 s0, s[40:41], s[2:3]
	s_delay_alu instid0(VALU_DEP_2) | instskip(NEXT) | instid1(VALU_DEP_3)
	v_mad_co_u64_u32 v[10:11], null, v2, 18, v[10:11]
	v_add_co_u32 v11, vcc_lo, v9, v0
	s_wait_alu 0xfffd
	s_delay_alu instid0(VALU_DEP_2)
	v_add_co_ci_u32_e64 v12, null, 0, v10, vcc_lo
	s_and_b32 vcc_lo, exec_lo, s0
	s_clause 0x1
	global_load_u8 v11, v[11:12], off offset:2
	global_load_u16 v9, v[9:10], off
	s_wait_loadcnt 0x1
	v_lshrrev_b32_e32 v10, v7, v11
	v_lshrrev_b32_e32 v11, v8, v11
	s_wait_loadcnt 0x0
	v_cvt_f32_f16_e32 v9, v9
	s_delay_alu instid0(VALU_DEP_2) | instskip(NEXT) | instid1(VALU_DEP_1)
	v_lshlrev_b32_e32 v11, 1, v11
	v_and_b32_e32 v11, 2, v11
	s_delay_alu instid0(VALU_DEP_1) | instskip(NEXT) | instid1(VALU_DEP_1)
	v_add_nc_u32_e32 v11, -1, v11
	v_cvt_f32_i32_e32 v11, v11
	v_lshlrev_b32_e32 v10, 1, v10
	s_delay_alu instid0(VALU_DEP_1) | instskip(NEXT) | instid1(VALU_DEP_1)
	v_and_b32_e32 v10, 2, v10
	v_add_nc_u32_e32 v10, -1, v10
	s_delay_alu instid0(VALU_DEP_1) | instskip(NEXT) | instid1(VALU_DEP_1)
	v_cvt_f32_i32_e32 v10, v10
	v_mul_f32_e32 v10, v9, v10
	v_mul_f32_e32 v9, v9, v11
	s_delay_alu instid0(VALU_DEP_2) | instskip(NEXT) | instid1(VALU_DEP_2)
	v_bfe_u32 v11, v10, 16, 1
	v_bfe_u32 v12, v9, 16, 1
	v_or_b32_e32 v13, 0x400000, v10
	v_or_b32_e32 v14, 0x400000, v9
	v_cmp_u_f32_e64 s0, v9, v9
	v_add3_u32 v11, v11, v10, 0x7fff
	v_add3_u32 v12, v12, v9, 0x7fff
	v_cmp_u_f32_e64 s1, v10, v10
	s_wait_alu 0xf1ff
	s_delay_alu instid0(VALU_DEP_2) | instskip(NEXT) | instid1(VALU_DEP_2)
	v_cndmask_b32_e64 v10, v12, v14, s0
	v_cndmask_b32_e64 v9, v11, v13, s1
	s_delay_alu instid0(VALU_DEP_1)
	v_perm_b32 v9, v10, v9, 0x7060302
	global_store_b32 v[5:6], v9, off offset:-2
	v_add_co_u32 v5, s0, v5, s38
	s_wait_alu 0xf1ff
	v_add_co_ci_u32_e64 v6, null, s39, v6, s0
	s_wait_alu 0xfffe
	s_cbranch_vccz .LBB47_6
	s_branch .LBB47_3
.LBB47_7:
	s_endpgm
	.section	.rodata,"a",@progbits
	.p2align	6, 0x0
	.amdhsa_kernel _ZL16dequantize_blockILi128ELi1EXadL_ZL15dequantize_q1_0PKvliR15HIP_vector_typeIfLj2EEEE14__hip_bfloat16EvS1_PT2_lllS2_IjLj3EElll
		.amdhsa_group_segment_fixed_size 0
		.amdhsa_private_segment_fixed_size 0
		.amdhsa_kernarg_size 336
		.amdhsa_user_sgpr_count 2
		.amdhsa_user_sgpr_dispatch_ptr 0
		.amdhsa_user_sgpr_queue_ptr 0
		.amdhsa_user_sgpr_kernarg_segment_ptr 1
		.amdhsa_user_sgpr_dispatch_id 0
		.amdhsa_user_sgpr_private_segment_size 0
		.amdhsa_wavefront_size32 1
		.amdhsa_uses_dynamic_stack 0
		.amdhsa_enable_private_segment 0
		.amdhsa_system_sgpr_workgroup_id_x 1
		.amdhsa_system_sgpr_workgroup_id_y 1
		.amdhsa_system_sgpr_workgroup_id_z 1
		.amdhsa_system_sgpr_workgroup_info 0
		.amdhsa_system_vgpr_workitem_id 0
		.amdhsa_next_free_vgpr 15
		.amdhsa_next_free_sgpr 44
		.amdhsa_reserve_vcc 1
		.amdhsa_float_round_mode_32 0
		.amdhsa_float_round_mode_16_64 0
		.amdhsa_float_denorm_mode_32 3
		.amdhsa_float_denorm_mode_16_64 3
		.amdhsa_fp16_overflow 0
		.amdhsa_workgroup_processor_mode 1
		.amdhsa_memory_ordered 1
		.amdhsa_forward_progress 1
		.amdhsa_inst_pref_size 8
		.amdhsa_round_robin_scheduling 0
		.amdhsa_exception_fp_ieee_invalid_op 0
		.amdhsa_exception_fp_denorm_src 0
		.amdhsa_exception_fp_ieee_div_zero 0
		.amdhsa_exception_fp_ieee_overflow 0
		.amdhsa_exception_fp_ieee_underflow 0
		.amdhsa_exception_fp_ieee_inexact 0
		.amdhsa_exception_int_div_zero 0
	.end_amdhsa_kernel
	.section	.text._ZL16dequantize_blockILi128ELi1EXadL_ZL15dequantize_q1_0PKvliR15HIP_vector_typeIfLj2EEEE14__hip_bfloat16EvS1_PT2_lllS2_IjLj3EElll,"axG",@progbits,_ZL16dequantize_blockILi128ELi1EXadL_ZL15dequantize_q1_0PKvliR15HIP_vector_typeIfLj2EEEE14__hip_bfloat16EvS1_PT2_lllS2_IjLj3EElll,comdat
.Lfunc_end47:
	.size	_ZL16dequantize_blockILi128ELi1EXadL_ZL15dequantize_q1_0PKvliR15HIP_vector_typeIfLj2EEEE14__hip_bfloat16EvS1_PT2_lllS2_IjLj3EElll, .Lfunc_end47-_ZL16dequantize_blockILi128ELi1EXadL_ZL15dequantize_q1_0PKvliR15HIP_vector_typeIfLj2EEEE14__hip_bfloat16EvS1_PT2_lllS2_IjLj3EElll
                                        ; -- End function
	.set _ZL16dequantize_blockILi128ELi1EXadL_ZL15dequantize_q1_0PKvliR15HIP_vector_typeIfLj2EEEE14__hip_bfloat16EvS1_PT2_lllS2_IjLj3EElll.num_vgpr, 15
	.set _ZL16dequantize_blockILi128ELi1EXadL_ZL15dequantize_q1_0PKvliR15HIP_vector_typeIfLj2EEEE14__hip_bfloat16EvS1_PT2_lllS2_IjLj3EElll.num_agpr, 0
	.set _ZL16dequantize_blockILi128ELi1EXadL_ZL15dequantize_q1_0PKvliR15HIP_vector_typeIfLj2EEEE14__hip_bfloat16EvS1_PT2_lllS2_IjLj3EElll.numbered_sgpr, 44
	.set _ZL16dequantize_blockILi128ELi1EXadL_ZL15dequantize_q1_0PKvliR15HIP_vector_typeIfLj2EEEE14__hip_bfloat16EvS1_PT2_lllS2_IjLj3EElll.num_named_barrier, 0
	.set _ZL16dequantize_blockILi128ELi1EXadL_ZL15dequantize_q1_0PKvliR15HIP_vector_typeIfLj2EEEE14__hip_bfloat16EvS1_PT2_lllS2_IjLj3EElll.private_seg_size, 0
	.set _ZL16dequantize_blockILi128ELi1EXadL_ZL15dequantize_q1_0PKvliR15HIP_vector_typeIfLj2EEEE14__hip_bfloat16EvS1_PT2_lllS2_IjLj3EElll.uses_vcc, 1
	.set _ZL16dequantize_blockILi128ELi1EXadL_ZL15dequantize_q1_0PKvliR15HIP_vector_typeIfLj2EEEE14__hip_bfloat16EvS1_PT2_lllS2_IjLj3EElll.uses_flat_scratch, 0
	.set _ZL16dequantize_blockILi128ELi1EXadL_ZL15dequantize_q1_0PKvliR15HIP_vector_typeIfLj2EEEE14__hip_bfloat16EvS1_PT2_lllS2_IjLj3EElll.has_dyn_sized_stack, 0
	.set _ZL16dequantize_blockILi128ELi1EXadL_ZL15dequantize_q1_0PKvliR15HIP_vector_typeIfLj2EEEE14__hip_bfloat16EvS1_PT2_lllS2_IjLj3EElll.has_recursion, 0
	.set _ZL16dequantize_blockILi128ELi1EXadL_ZL15dequantize_q1_0PKvliR15HIP_vector_typeIfLj2EEEE14__hip_bfloat16EvS1_PT2_lllS2_IjLj3EElll.has_indirect_call, 0
	.section	.AMDGPU.csdata,"",@progbits
; Kernel info:
; codeLenInByte = 920
; TotalNumSgprs: 46
; NumVgprs: 15
; ScratchSize: 0
; MemoryBound: 0
; FloatMode: 240
; IeeeMode: 1
; LDSByteSize: 0 bytes/workgroup (compile time only)
; SGPRBlocks: 0
; VGPRBlocks: 1
; NumSGPRsForWavesPerEU: 46
; NumVGPRsForWavesPerEU: 15
; Occupancy: 16
; WaveLimiterHint : 0
; COMPUTE_PGM_RSRC2:SCRATCH_EN: 0
; COMPUTE_PGM_RSRC2:USER_SGPR: 2
; COMPUTE_PGM_RSRC2:TRAP_HANDLER: 0
; COMPUTE_PGM_RSRC2:TGID_X_EN: 1
; COMPUTE_PGM_RSRC2:TGID_Y_EN: 1
; COMPUTE_PGM_RSRC2:TGID_Z_EN: 1
; COMPUTE_PGM_RSRC2:TIDIG_COMP_CNT: 0
	.section	.text._ZL16dequantize_blockILi32ELi2EXadL_ZL15dequantize_q4_0PKvliR15HIP_vector_typeIfLj2EEEE14__hip_bfloat16EvS1_PT2_lllS2_IjLj3EElll,"axG",@progbits,_ZL16dequantize_blockILi32ELi2EXadL_ZL15dequantize_q4_0PKvliR15HIP_vector_typeIfLj2EEEE14__hip_bfloat16EvS1_PT2_lllS2_IjLj3EElll,comdat
	.globl	_ZL16dequantize_blockILi32ELi2EXadL_ZL15dequantize_q4_0PKvliR15HIP_vector_typeIfLj2EEEE14__hip_bfloat16EvS1_PT2_lllS2_IjLj3EElll ; -- Begin function _ZL16dequantize_blockILi32ELi2EXadL_ZL15dequantize_q4_0PKvliR15HIP_vector_typeIfLj2EEEE14__hip_bfloat16EvS1_PT2_lllS2_IjLj3EElll
	.p2align	8
	.type	_ZL16dequantize_blockILi32ELi2EXadL_ZL15dequantize_q4_0PKvliR15HIP_vector_typeIfLj2EEEE14__hip_bfloat16EvS1_PT2_lllS2_IjLj3EElll,@function
_ZL16dequantize_blockILi32ELi2EXadL_ZL15dequantize_q4_0PKvliR15HIP_vector_typeIfLj2EEEE14__hip_bfloat16EvS1_PT2_lllS2_IjLj3EElll: ; @_ZL16dequantize_blockILi32ELi2EXadL_ZL15dequantize_q4_0PKvliR15HIP_vector_typeIfLj2EEEE14__hip_bfloat16EvS1_PT2_lllS2_IjLj3EElll
; %bb.0:
	s_clause 0x1
	s_load_b32 s2, s[0:1], 0x5c
	s_load_b128 s[4:7], s[0:1], 0x10
	v_mov_b32_e32 v1, 0
	s_wait_kmcnt 0x0
	s_and_b32 s2, s2, 0xffff
	s_delay_alu instid0(VALU_DEP_1) | instid1(SALU_CYCLE_1)
	v_mad_co_u64_u32 v[2:3], null, s2, ttmp9, v[0:1]
	s_mov_b32 s2, exec_lo
	v_lshlrev_b64_e32 v[0:1], 1, v[2:3]
	s_delay_alu instid0(VALU_DEP_1)
	v_cmpx_gt_i64_e64 s[4:5], v[0:1]
	s_cbranch_execz .LBB48_7
; %bb.1:
	s_load_b64 s[2:3], s[0:1], 0x20
	s_mov_b32 s21, 0
	s_and_b32 s20, ttmp7, 0xffff
	s_delay_alu instid0(SALU_CYCLE_1)
	v_cmp_le_i64_e64 s8, s[6:7], s[20:21]
	s_and_b32 vcc_lo, exec_lo, s8
	s_cbranch_vccnz .LBB48_7
; %bb.2:
	v_lshrrev_b64 v[0:1], 4, v[2:3]
	s_clause 0x1
	s_load_b96 s[16:18], s[0:1], 0x28
	s_load_b128 s[8:11], s[0:1], 0x0
	s_lshr_b32 s24, ttmp7, 16
	s_mov_b32 s25, s21
	s_add_nc_u64 s[22:23], s[0:1], 0x50
	s_mul_u64 s[12:13], s[6:7], s[24:25]
	v_and_b32_e32 v6, 15, v2
	s_add_nc_u64 s[30:31], s[12:13], s[20:21]
	v_lshlrev_b64_e32 v[2:3], 6, v[0:1]
	s_load_b32 s26, s[22:23], 0x4
	s_clause 0x1
	s_load_b128 s[12:15], s[0:1], 0x38
	s_load_b64 s[28:29], s[0:1], 0x48
	s_mul_u64 s[0:1], s[4:5], s[30:31]
	v_lshlrev_b32_e32 v4, 1, v6
	s_wait_alu 0xfffe
	s_lshl_b64 s[0:1], s[0:1], 1
	s_mov_b32 s27, s21
	s_wait_alu 0xfffe
	v_add_co_u32 v2, vcc_lo, s0, v2
	s_delay_alu instid0(VALU_DEP_1)
	v_add_co_ci_u32_e64 v3, null, s1, v3, vcc_lo
	s_mov_b32 s31, s21
	v_add_co_u32 v2, vcc_lo, v2, v4
	s_wait_alu 0xfffd
	v_add_co_ci_u32_e64 v3, null, 0, v3, vcc_lo
	s_wait_kmcnt 0x0
	s_mov_b32 s30, s16
	v_add_co_u32 v2, vcc_lo, s10, v2
	s_wait_alu 0xfffd
	v_add_co_ci_u32_e64 v3, null, s11, v3, vcc_lo
	s_mul_u64 s[0:1], s[4:5], s[26:27]
	v_add_co_u32 v2, vcc_lo, v2, 32
	v_cmp_gt_i64_e64 s16, s[2:3], s[24:25]
	s_wait_alu 0xfffd
	v_add_co_ci_u32_e64 v3, null, 0, v3, vcc_lo
	s_wait_alu 0xfffe
	s_lshl_b64 s[10:11], s[0:1], 1
	s_mul_u64 s[0:1], s[6:7], s[4:5]
	s_sub_co_i32 s33, 0, s18
	s_wait_alu 0xfffe
	s_lshl_b64 s[4:5], s[0:1], 1
	s_mov_b64 s[18:19], s[20:21]
	s_branch .LBB48_4
.LBB48_3:                               ;   in Loop: Header=BB48_4 Depth=1
	s_add_nc_u64 s[18:19], s[18:19], s[26:27]
	v_add_co_u32 v2, vcc_lo, v2, s10
	s_wait_alu 0xfffe
	v_cmp_ge_i64_e64 s0, s[18:19], s[6:7]
	s_wait_alu 0xfffd
	v_add_co_ci_u32_e64 v3, null, s11, v3, vcc_lo
	s_and_b32 vcc_lo, exec_lo, s0
	s_wait_alu 0xfffe
	s_cbranch_vccnz .LBB48_7
.LBB48_4:                               ; =>This Loop Header: Depth=1
                                        ;     Child Loop BB48_6 Depth 2
	s_and_not1_b32 vcc_lo, exec_lo, s16
	s_wait_alu 0xfffe
	s_cbranch_vccnz .LBB48_3
; %bb.5:                                ;   in Loop: Header=BB48_4 Depth=1
	s_load_b32 s34, s[22:23], 0x8
	v_dual_mov_b32 v5, v3 :: v_dual_mov_b32 v4, v2
	s_mul_u64 s[0:1], s[18:19], s[12:13]
	s_mov_b32 s35, s21
	s_wait_alu 0xfffe
	s_mul_u64 s[36:37], s[0:1], 18
	s_mov_b64 s[40:41], s[24:25]
	s_wait_kmcnt 0x0
	s_mul_u64 s[38:39], s[4:5], s[34:35]
.LBB48_6:                               ;   Parent Loop BB48_4 Depth=1
                                        ; =>  This Inner Loop Header: Depth=2
	s_wait_alu 0xfffe
	s_mov_b32 s20, s40
	s_mov_b32 s1, s21
	s_wait_alu 0xfffe
	s_mul_u64 s[42:43], s[30:31], s[20:21]
	s_delay_alu instid0(SALU_CYCLE_1)
	s_add_co_i32 s0, s40, s43
	s_wait_alu 0xfffe
	s_lshr_b32 s0, s0, s17
	s_wait_alu 0xfffe
	s_mul_i32 s20, s33, s0
	s_mul_u64 s[0:1], s[28:29], s[0:1]
	s_wait_alu 0xfffe
	s_add_co_i32 s20, s40, s20
	s_mul_u64 s[0:1], s[0:1], 18
	s_wait_alu 0xfffe
	s_mul_u64 s[42:43], s[14:15], s[20:21]
	s_add_nc_u64 s[0:1], s[8:9], s[0:1]
	s_mul_u64 s[42:43], s[42:43], 18
	s_add_nc_u64 s[40:41], s[40:41], s[34:35]
	s_wait_alu 0xfffe
	s_add_nc_u64 s[0:1], s[0:1], s[42:43]
	s_wait_alu 0xfffe
	s_add_nc_u64 s[0:1], s[0:1], s[36:37]
	s_wait_alu 0xfffe
	v_mad_co_u64_u32 v[7:8], null, v0, 18, s[0:1]
	v_cmp_ge_i64_e64 s0, s[40:41], s[2:3]
	s_delay_alu instid0(VALU_DEP_2) | instskip(NEXT) | instid1(VALU_DEP_3)
	v_mad_co_u64_u32 v[8:9], null, v1, 18, v[8:9]
	v_add_co_u32 v9, vcc_lo, v7, v6
	s_wait_alu 0xfffd
	s_delay_alu instid0(VALU_DEP_2)
	v_add_co_ci_u32_e64 v10, null, 0, v8, vcc_lo
	s_and_b32 vcc_lo, exec_lo, s0
	s_clause 0x1
	global_load_u8 v9, v[9:10], off offset:2
	global_load_u16 v7, v[7:8], off
	s_wait_loadcnt 0x1
	v_and_b32_e32 v8, 15, v9
	v_lshrrev_b32_e32 v9, 4, v9
	s_wait_loadcnt 0x0
	v_cvt_f32_f16_e32 v7, v7
	s_delay_alu instid0(VALU_DEP_2) | instskip(NEXT) | instid1(VALU_DEP_1)
	v_add_nc_u32_e32 v9, -8, v9
	v_cvt_f32_i32_e32 v9, v9
	v_add_nc_u32_e32 v8, -8, v8
	s_delay_alu instid0(VALU_DEP_1) | instskip(NEXT) | instid1(VALU_DEP_1)
	v_cvt_f32_i32_e32 v8, v8
	v_mul_f32_e32 v8, v7, v8
	s_delay_alu instid0(VALU_DEP_4) | instskip(NEXT) | instid1(VALU_DEP_2)
	v_mul_f32_e32 v7, v7, v9
	v_bfe_u32 v9, v8, 16, 1
	s_delay_alu instid0(VALU_DEP_2)
	v_bfe_u32 v10, v7, 16, 1
	v_or_b32_e32 v11, 0x400000, v8
	v_cmp_u_f32_e64 s1, v8, v8
	v_or_b32_e32 v12, 0x400000, v7
	v_add3_u32 v9, v9, v8, 0x7fff
	v_add3_u32 v10, v10, v7, 0x7fff
	v_cmp_u_f32_e64 s0, v7, v7
	s_wait_alu 0xf1ff
	s_delay_alu instid0(VALU_DEP_3) | instskip(NEXT) | instid1(VALU_DEP_2)
	v_cndmask_b32_e64 v7, v9, v11, s1
	v_cndmask_b32_e64 v8, v10, v12, s0
	s_clause 0x1
	global_store_d16_hi_b16 v[4:5], v7, off offset:-32
	global_store_d16_hi_b16 v[4:5], v8, off
	v_add_co_u32 v4, s0, v4, s38
	s_wait_alu 0xf1ff
	v_add_co_ci_u32_e64 v5, null, s39, v5, s0
	s_wait_alu 0xfffe
	s_cbranch_vccz .LBB48_6
	s_branch .LBB48_3
.LBB48_7:
	s_endpgm
	.section	.rodata,"a",@progbits
	.p2align	6, 0x0
	.amdhsa_kernel _ZL16dequantize_blockILi32ELi2EXadL_ZL15dequantize_q4_0PKvliR15HIP_vector_typeIfLj2EEEE14__hip_bfloat16EvS1_PT2_lllS2_IjLj3EElll
		.amdhsa_group_segment_fixed_size 0
		.amdhsa_private_segment_fixed_size 0
		.amdhsa_kernarg_size 336
		.amdhsa_user_sgpr_count 2
		.amdhsa_user_sgpr_dispatch_ptr 0
		.amdhsa_user_sgpr_queue_ptr 0
		.amdhsa_user_sgpr_kernarg_segment_ptr 1
		.amdhsa_user_sgpr_dispatch_id 0
		.amdhsa_user_sgpr_private_segment_size 0
		.amdhsa_wavefront_size32 1
		.amdhsa_uses_dynamic_stack 0
		.amdhsa_enable_private_segment 0
		.amdhsa_system_sgpr_workgroup_id_x 1
		.amdhsa_system_sgpr_workgroup_id_y 1
		.amdhsa_system_sgpr_workgroup_id_z 1
		.amdhsa_system_sgpr_workgroup_info 0
		.amdhsa_system_vgpr_workitem_id 0
		.amdhsa_next_free_vgpr 13
		.amdhsa_next_free_sgpr 44
		.amdhsa_reserve_vcc 1
		.amdhsa_float_round_mode_32 0
		.amdhsa_float_round_mode_16_64 0
		.amdhsa_float_denorm_mode_32 3
		.amdhsa_float_denorm_mode_16_64 3
		.amdhsa_fp16_overflow 0
		.amdhsa_workgroup_processor_mode 1
		.amdhsa_memory_ordered 1
		.amdhsa_forward_progress 1
		.amdhsa_inst_pref_size 7
		.amdhsa_round_robin_scheduling 0
		.amdhsa_exception_fp_ieee_invalid_op 0
		.amdhsa_exception_fp_denorm_src 0
		.amdhsa_exception_fp_ieee_div_zero 0
		.amdhsa_exception_fp_ieee_overflow 0
		.amdhsa_exception_fp_ieee_underflow 0
		.amdhsa_exception_fp_ieee_inexact 0
		.amdhsa_exception_int_div_zero 0
	.end_amdhsa_kernel
	.section	.text._ZL16dequantize_blockILi32ELi2EXadL_ZL15dequantize_q4_0PKvliR15HIP_vector_typeIfLj2EEEE14__hip_bfloat16EvS1_PT2_lllS2_IjLj3EElll,"axG",@progbits,_ZL16dequantize_blockILi32ELi2EXadL_ZL15dequantize_q4_0PKvliR15HIP_vector_typeIfLj2EEEE14__hip_bfloat16EvS1_PT2_lllS2_IjLj3EElll,comdat
.Lfunc_end48:
	.size	_ZL16dequantize_blockILi32ELi2EXadL_ZL15dequantize_q4_0PKvliR15HIP_vector_typeIfLj2EEEE14__hip_bfloat16EvS1_PT2_lllS2_IjLj3EElll, .Lfunc_end48-_ZL16dequantize_blockILi32ELi2EXadL_ZL15dequantize_q4_0PKvliR15HIP_vector_typeIfLj2EEEE14__hip_bfloat16EvS1_PT2_lllS2_IjLj3EElll
                                        ; -- End function
	.set _ZL16dequantize_blockILi32ELi2EXadL_ZL15dequantize_q4_0PKvliR15HIP_vector_typeIfLj2EEEE14__hip_bfloat16EvS1_PT2_lllS2_IjLj3EElll.num_vgpr, 13
	.set _ZL16dequantize_blockILi32ELi2EXadL_ZL15dequantize_q4_0PKvliR15HIP_vector_typeIfLj2EEEE14__hip_bfloat16EvS1_PT2_lllS2_IjLj3EElll.num_agpr, 0
	.set _ZL16dequantize_blockILi32ELi2EXadL_ZL15dequantize_q4_0PKvliR15HIP_vector_typeIfLj2EEEE14__hip_bfloat16EvS1_PT2_lllS2_IjLj3EElll.numbered_sgpr, 44
	.set _ZL16dequantize_blockILi32ELi2EXadL_ZL15dequantize_q4_0PKvliR15HIP_vector_typeIfLj2EEEE14__hip_bfloat16EvS1_PT2_lllS2_IjLj3EElll.num_named_barrier, 0
	.set _ZL16dequantize_blockILi32ELi2EXadL_ZL15dequantize_q4_0PKvliR15HIP_vector_typeIfLj2EEEE14__hip_bfloat16EvS1_PT2_lllS2_IjLj3EElll.private_seg_size, 0
	.set _ZL16dequantize_blockILi32ELi2EXadL_ZL15dequantize_q4_0PKvliR15HIP_vector_typeIfLj2EEEE14__hip_bfloat16EvS1_PT2_lllS2_IjLj3EElll.uses_vcc, 1
	.set _ZL16dequantize_blockILi32ELi2EXadL_ZL15dequantize_q4_0PKvliR15HIP_vector_typeIfLj2EEEE14__hip_bfloat16EvS1_PT2_lllS2_IjLj3EElll.uses_flat_scratch, 0
	.set _ZL16dequantize_blockILi32ELi2EXadL_ZL15dequantize_q4_0PKvliR15HIP_vector_typeIfLj2EEEE14__hip_bfloat16EvS1_PT2_lllS2_IjLj3EElll.has_dyn_sized_stack, 0
	.set _ZL16dequantize_blockILi32ELi2EXadL_ZL15dequantize_q4_0PKvliR15HIP_vector_typeIfLj2EEEE14__hip_bfloat16EvS1_PT2_lllS2_IjLj3EElll.has_recursion, 0
	.set _ZL16dequantize_blockILi32ELi2EXadL_ZL15dequantize_q4_0PKvliR15HIP_vector_typeIfLj2EEEE14__hip_bfloat16EvS1_PT2_lllS2_IjLj3EElll.has_indirect_call, 0
	.section	.AMDGPU.csdata,"",@progbits
; Kernel info:
; codeLenInByte = 868
; TotalNumSgprs: 46
; NumVgprs: 13
; ScratchSize: 0
; MemoryBound: 0
; FloatMode: 240
; IeeeMode: 1
; LDSByteSize: 0 bytes/workgroup (compile time only)
; SGPRBlocks: 0
; VGPRBlocks: 1
; NumSGPRsForWavesPerEU: 46
; NumVGPRsForWavesPerEU: 13
; Occupancy: 16
; WaveLimiterHint : 0
; COMPUTE_PGM_RSRC2:SCRATCH_EN: 0
; COMPUTE_PGM_RSRC2:USER_SGPR: 2
; COMPUTE_PGM_RSRC2:TRAP_HANDLER: 0
; COMPUTE_PGM_RSRC2:TGID_X_EN: 1
; COMPUTE_PGM_RSRC2:TGID_Y_EN: 1
; COMPUTE_PGM_RSRC2:TGID_Z_EN: 1
; COMPUTE_PGM_RSRC2:TIDIG_COMP_CNT: 0
	.section	.text._ZL16dequantize_blockILi32ELi2EXadL_ZL15dequantize_q4_1PKvliR15HIP_vector_typeIfLj2EEEE14__hip_bfloat16EvS1_PT2_lllS2_IjLj3EElll,"axG",@progbits,_ZL16dequantize_blockILi32ELi2EXadL_ZL15dequantize_q4_1PKvliR15HIP_vector_typeIfLj2EEEE14__hip_bfloat16EvS1_PT2_lllS2_IjLj3EElll,comdat
	.globl	_ZL16dequantize_blockILi32ELi2EXadL_ZL15dequantize_q4_1PKvliR15HIP_vector_typeIfLj2EEEE14__hip_bfloat16EvS1_PT2_lllS2_IjLj3EElll ; -- Begin function _ZL16dequantize_blockILi32ELi2EXadL_ZL15dequantize_q4_1PKvliR15HIP_vector_typeIfLj2EEEE14__hip_bfloat16EvS1_PT2_lllS2_IjLj3EElll
	.p2align	8
	.type	_ZL16dequantize_blockILi32ELi2EXadL_ZL15dequantize_q4_1PKvliR15HIP_vector_typeIfLj2EEEE14__hip_bfloat16EvS1_PT2_lllS2_IjLj3EElll,@function
_ZL16dequantize_blockILi32ELi2EXadL_ZL15dequantize_q4_1PKvliR15HIP_vector_typeIfLj2EEEE14__hip_bfloat16EvS1_PT2_lllS2_IjLj3EElll: ; @_ZL16dequantize_blockILi32ELi2EXadL_ZL15dequantize_q4_1PKvliR15HIP_vector_typeIfLj2EEEE14__hip_bfloat16EvS1_PT2_lllS2_IjLj3EElll
; %bb.0:
	s_clause 0x1
	s_load_b32 s2, s[0:1], 0x5c
	s_load_b128 s[4:7], s[0:1], 0x10
	v_mov_b32_e32 v1, 0
	s_wait_kmcnt 0x0
	s_and_b32 s2, s2, 0xffff
	s_delay_alu instid0(VALU_DEP_1) | instid1(SALU_CYCLE_1)
	v_mad_co_u64_u32 v[2:3], null, s2, ttmp9, v[0:1]
	s_mov_b32 s2, exec_lo
	v_lshlrev_b64_e32 v[0:1], 1, v[2:3]
	s_delay_alu instid0(VALU_DEP_1)
	v_cmpx_gt_i64_e64 s[4:5], v[0:1]
	s_cbranch_execz .LBB49_7
; %bb.1:
	s_load_b64 s[2:3], s[0:1], 0x20
	s_mov_b32 s21, 0
	s_and_b32 s20, ttmp7, 0xffff
	s_delay_alu instid0(SALU_CYCLE_1)
	v_cmp_le_i64_e64 s8, s[6:7], s[20:21]
	s_and_b32 vcc_lo, exec_lo, s8
	s_cbranch_vccnz .LBB49_7
; %bb.2:
	v_lshrrev_b64 v[0:1], 4, v[2:3]
	s_clause 0x1
	s_load_b96 s[16:18], s[0:1], 0x28
	s_load_b128 s[8:11], s[0:1], 0x0
	s_lshr_b32 s24, ttmp7, 16
	s_mov_b32 s25, s21
	s_add_nc_u64 s[22:23], s[0:1], 0x50
	s_mul_u64 s[12:13], s[6:7], s[24:25]
	v_and_b32_e32 v6, 15, v2
	s_add_nc_u64 s[30:31], s[12:13], s[20:21]
	v_lshlrev_b64_e32 v[2:3], 6, v[0:1]
	s_load_b32 s26, s[22:23], 0x4
	s_clause 0x1
	s_load_b128 s[12:15], s[0:1], 0x38
	s_load_b64 s[28:29], s[0:1], 0x48
	s_mul_u64 s[0:1], s[4:5], s[30:31]
	v_lshlrev_b32_e32 v4, 1, v6
	s_wait_alu 0xfffe
	s_lshl_b64 s[0:1], s[0:1], 1
	s_mov_b32 s27, s21
	s_wait_alu 0xfffe
	v_add_co_u32 v2, vcc_lo, s0, v2
	s_delay_alu instid0(VALU_DEP_1)
	v_add_co_ci_u32_e64 v3, null, s1, v3, vcc_lo
	s_mov_b32 s31, s21
	v_add_co_u32 v2, vcc_lo, v2, v4
	s_wait_alu 0xfffd
	v_add_co_ci_u32_e64 v3, null, 0, v3, vcc_lo
	s_wait_kmcnt 0x0
	s_mov_b32 s30, s16
	v_add_co_u32 v2, vcc_lo, s10, v2
	s_wait_alu 0xfffd
	v_add_co_ci_u32_e64 v3, null, s11, v3, vcc_lo
	s_mul_u64 s[0:1], s[4:5], s[26:27]
	v_add_co_u32 v2, vcc_lo, v2, 32
	v_cmp_gt_i64_e64 s16, s[2:3], s[24:25]
	s_wait_alu 0xfffd
	v_add_co_ci_u32_e64 v3, null, 0, v3, vcc_lo
	s_wait_alu 0xfffe
	s_lshl_b64 s[10:11], s[0:1], 1
	s_mul_u64 s[0:1], s[6:7], s[4:5]
	s_sub_co_i32 s33, 0, s18
	s_wait_alu 0xfffe
	s_lshl_b64 s[4:5], s[0:1], 1
	s_mov_b64 s[18:19], s[20:21]
	s_branch .LBB49_4
.LBB49_3:                               ;   in Loop: Header=BB49_4 Depth=1
	s_add_nc_u64 s[18:19], s[18:19], s[26:27]
	v_add_co_u32 v2, vcc_lo, v2, s10
	s_wait_alu 0xfffe
	v_cmp_ge_i64_e64 s0, s[18:19], s[6:7]
	s_wait_alu 0xfffd
	v_add_co_ci_u32_e64 v3, null, s11, v3, vcc_lo
	s_and_b32 vcc_lo, exec_lo, s0
	s_wait_alu 0xfffe
	s_cbranch_vccnz .LBB49_7
.LBB49_4:                               ; =>This Loop Header: Depth=1
                                        ;     Child Loop BB49_6 Depth 2
	s_and_not1_b32 vcc_lo, exec_lo, s16
	s_wait_alu 0xfffe
	s_cbranch_vccnz .LBB49_3
; %bb.5:                                ;   in Loop: Header=BB49_4 Depth=1
	s_load_b32 s34, s[22:23], 0x8
	v_dual_mov_b32 v5, v3 :: v_dual_mov_b32 v4, v2
	s_mul_u64 s[0:1], s[18:19], s[12:13]
	s_mov_b32 s35, s21
	s_wait_alu 0xfffe
	s_mul_u64 s[36:37], s[0:1], 20
	s_mov_b64 s[40:41], s[24:25]
	s_wait_kmcnt 0x0
	s_mul_u64 s[38:39], s[4:5], s[34:35]
.LBB49_6:                               ;   Parent Loop BB49_4 Depth=1
                                        ; =>  This Inner Loop Header: Depth=2
	s_wait_alu 0xfffe
	s_mov_b32 s20, s40
	s_mov_b32 s1, s21
	s_wait_alu 0xfffe
	s_mul_u64 s[42:43], s[30:31], s[20:21]
	s_delay_alu instid0(SALU_CYCLE_1)
	s_add_co_i32 s0, s40, s43
	s_wait_alu 0xfffe
	s_lshr_b32 s0, s0, s17
	s_wait_alu 0xfffe
	s_mul_i32 s20, s33, s0
	s_mul_u64 s[0:1], s[28:29], s[0:1]
	s_wait_alu 0xfffe
	s_add_co_i32 s20, s40, s20
	s_mul_u64 s[0:1], s[0:1], 20
	s_wait_alu 0xfffe
	s_mul_u64 s[42:43], s[14:15], s[20:21]
	s_add_nc_u64 s[0:1], s[8:9], s[0:1]
	s_mul_u64 s[42:43], s[42:43], 20
	s_add_nc_u64 s[40:41], s[40:41], s[34:35]
	s_wait_alu 0xfffe
	s_add_nc_u64 s[0:1], s[0:1], s[42:43]
	s_wait_alu 0xfffe
	;; [unrolled: 2-line block ×3, first 2 shown]
	v_mad_co_u64_u32 v[7:8], null, v0, 20, s[0:1]
	v_cmp_ge_i64_e64 s0, s[40:41], s[2:3]
	s_delay_alu instid0(VALU_DEP_2) | instskip(NEXT) | instid1(VALU_DEP_3)
	v_mad_co_u64_u32 v[8:9], null, v1, 20, v[8:9]
	v_add_co_u32 v9, vcc_lo, v7, v6
	s_wait_alu 0xfffd
	s_delay_alu instid0(VALU_DEP_2)
	v_add_co_ci_u32_e64 v10, null, 0, v8, vcc_lo
	s_and_b32 vcc_lo, exec_lo, s0
	s_clause 0x1
	global_load_u8 v9, v[9:10], off offset:4
	global_load_b32 v7, v[7:8], off
	s_wait_loadcnt 0x1
	v_and_b32_e32 v8, 15, v9
	v_lshrrev_b32_e32 v9, 4, v9
	s_delay_alu instid0(VALU_DEP_2) | instskip(NEXT) | instid1(VALU_DEP_2)
	v_cvt_f32_ubyte0_e32 v8, v8
	v_cvt_f32_ubyte0_e32 v9, v9
	s_wait_loadcnt 0x0
	s_delay_alu instid0(VALU_DEP_2) | instskip(NEXT) | instid1(VALU_DEP_2)
	v_fma_mix_f32 v8, v7, v8, v7 op_sel:[0,0,1] op_sel_hi:[1,0,1]
	v_fma_mix_f32 v7, v7, v9, v7 op_sel:[0,0,1] op_sel_hi:[1,0,1]
	s_delay_alu instid0(VALU_DEP_2) | instskip(NEXT) | instid1(VALU_DEP_2)
	v_bfe_u32 v9, v8, 16, 1
	v_bfe_u32 v10, v7, 16, 1
	v_or_b32_e32 v11, 0x400000, v8
	v_cmp_u_f32_e64 s1, v8, v8
	v_or_b32_e32 v12, 0x400000, v7
	v_add3_u32 v9, v9, v8, 0x7fff
	v_add3_u32 v10, v10, v7, 0x7fff
	v_cmp_u_f32_e64 s0, v7, v7
	s_wait_alu 0xf1ff
	s_delay_alu instid0(VALU_DEP_3) | instskip(NEXT) | instid1(VALU_DEP_2)
	v_cndmask_b32_e64 v7, v9, v11, s1
	v_cndmask_b32_e64 v8, v10, v12, s0
	s_clause 0x1
	global_store_d16_hi_b16 v[4:5], v7, off offset:-32
	global_store_d16_hi_b16 v[4:5], v8, off
	v_add_co_u32 v4, s0, v4, s38
	s_wait_alu 0xf1ff
	v_add_co_ci_u32_e64 v5, null, s39, v5, s0
	s_wait_alu 0xfffe
	s_cbranch_vccz .LBB49_6
	s_branch .LBB49_3
.LBB49_7:
	s_endpgm
	.section	.rodata,"a",@progbits
	.p2align	6, 0x0
	.amdhsa_kernel _ZL16dequantize_blockILi32ELi2EXadL_ZL15dequantize_q4_1PKvliR15HIP_vector_typeIfLj2EEEE14__hip_bfloat16EvS1_PT2_lllS2_IjLj3EElll
		.amdhsa_group_segment_fixed_size 0
		.amdhsa_private_segment_fixed_size 0
		.amdhsa_kernarg_size 336
		.amdhsa_user_sgpr_count 2
		.amdhsa_user_sgpr_dispatch_ptr 0
		.amdhsa_user_sgpr_queue_ptr 0
		.amdhsa_user_sgpr_kernarg_segment_ptr 1
		.amdhsa_user_sgpr_dispatch_id 0
		.amdhsa_user_sgpr_private_segment_size 0
		.amdhsa_wavefront_size32 1
		.amdhsa_uses_dynamic_stack 0
		.amdhsa_enable_private_segment 0
		.amdhsa_system_sgpr_workgroup_id_x 1
		.amdhsa_system_sgpr_workgroup_id_y 1
		.amdhsa_system_sgpr_workgroup_id_z 1
		.amdhsa_system_sgpr_workgroup_info 0
		.amdhsa_system_vgpr_workitem_id 0
		.amdhsa_next_free_vgpr 13
		.amdhsa_next_free_sgpr 44
		.amdhsa_reserve_vcc 1
		.amdhsa_float_round_mode_32 0
		.amdhsa_float_round_mode_16_64 0
		.amdhsa_float_denorm_mode_32 3
		.amdhsa_float_denorm_mode_16_64 3
		.amdhsa_fp16_overflow 0
		.amdhsa_workgroup_processor_mode 1
		.amdhsa_memory_ordered 1
		.amdhsa_forward_progress 1
		.amdhsa_inst_pref_size 7
		.amdhsa_round_robin_scheduling 0
		.amdhsa_exception_fp_ieee_invalid_op 0
		.amdhsa_exception_fp_denorm_src 0
		.amdhsa_exception_fp_ieee_div_zero 0
		.amdhsa_exception_fp_ieee_overflow 0
		.amdhsa_exception_fp_ieee_underflow 0
		.amdhsa_exception_fp_ieee_inexact 0
		.amdhsa_exception_int_div_zero 0
	.end_amdhsa_kernel
	.section	.text._ZL16dequantize_blockILi32ELi2EXadL_ZL15dequantize_q4_1PKvliR15HIP_vector_typeIfLj2EEEE14__hip_bfloat16EvS1_PT2_lllS2_IjLj3EElll,"axG",@progbits,_ZL16dequantize_blockILi32ELi2EXadL_ZL15dequantize_q4_1PKvliR15HIP_vector_typeIfLj2EEEE14__hip_bfloat16EvS1_PT2_lllS2_IjLj3EElll,comdat
.Lfunc_end49:
	.size	_ZL16dequantize_blockILi32ELi2EXadL_ZL15dequantize_q4_1PKvliR15HIP_vector_typeIfLj2EEEE14__hip_bfloat16EvS1_PT2_lllS2_IjLj3EElll, .Lfunc_end49-_ZL16dequantize_blockILi32ELi2EXadL_ZL15dequantize_q4_1PKvliR15HIP_vector_typeIfLj2EEEE14__hip_bfloat16EvS1_PT2_lllS2_IjLj3EElll
                                        ; -- End function
	.set _ZL16dequantize_blockILi32ELi2EXadL_ZL15dequantize_q4_1PKvliR15HIP_vector_typeIfLj2EEEE14__hip_bfloat16EvS1_PT2_lllS2_IjLj3EElll.num_vgpr, 13
	.set _ZL16dequantize_blockILi32ELi2EXadL_ZL15dequantize_q4_1PKvliR15HIP_vector_typeIfLj2EEEE14__hip_bfloat16EvS1_PT2_lllS2_IjLj3EElll.num_agpr, 0
	.set _ZL16dequantize_blockILi32ELi2EXadL_ZL15dequantize_q4_1PKvliR15HIP_vector_typeIfLj2EEEE14__hip_bfloat16EvS1_PT2_lllS2_IjLj3EElll.numbered_sgpr, 44
	.set _ZL16dequantize_blockILi32ELi2EXadL_ZL15dequantize_q4_1PKvliR15HIP_vector_typeIfLj2EEEE14__hip_bfloat16EvS1_PT2_lllS2_IjLj3EElll.num_named_barrier, 0
	.set _ZL16dequantize_blockILi32ELi2EXadL_ZL15dequantize_q4_1PKvliR15HIP_vector_typeIfLj2EEEE14__hip_bfloat16EvS1_PT2_lllS2_IjLj3EElll.private_seg_size, 0
	.set _ZL16dequantize_blockILi32ELi2EXadL_ZL15dequantize_q4_1PKvliR15HIP_vector_typeIfLj2EEEE14__hip_bfloat16EvS1_PT2_lllS2_IjLj3EElll.uses_vcc, 1
	.set _ZL16dequantize_blockILi32ELi2EXadL_ZL15dequantize_q4_1PKvliR15HIP_vector_typeIfLj2EEEE14__hip_bfloat16EvS1_PT2_lllS2_IjLj3EElll.uses_flat_scratch, 0
	.set _ZL16dequantize_blockILi32ELi2EXadL_ZL15dequantize_q4_1PKvliR15HIP_vector_typeIfLj2EEEE14__hip_bfloat16EvS1_PT2_lllS2_IjLj3EElll.has_dyn_sized_stack, 0
	.set _ZL16dequantize_blockILi32ELi2EXadL_ZL15dequantize_q4_1PKvliR15HIP_vector_typeIfLj2EEEE14__hip_bfloat16EvS1_PT2_lllS2_IjLj3EElll.has_recursion, 0
	.set _ZL16dequantize_blockILi32ELi2EXadL_ZL15dequantize_q4_1PKvliR15HIP_vector_typeIfLj2EEEE14__hip_bfloat16EvS1_PT2_lllS2_IjLj3EElll.has_indirect_call, 0
	.section	.AMDGPU.csdata,"",@progbits
; Kernel info:
; codeLenInByte = 860
; TotalNumSgprs: 46
; NumVgprs: 13
; ScratchSize: 0
; MemoryBound: 0
; FloatMode: 240
; IeeeMode: 1
; LDSByteSize: 0 bytes/workgroup (compile time only)
; SGPRBlocks: 0
; VGPRBlocks: 1
; NumSGPRsForWavesPerEU: 46
; NumVGPRsForWavesPerEU: 13
; Occupancy: 16
; WaveLimiterHint : 0
; COMPUTE_PGM_RSRC2:SCRATCH_EN: 0
; COMPUTE_PGM_RSRC2:USER_SGPR: 2
; COMPUTE_PGM_RSRC2:TRAP_HANDLER: 0
; COMPUTE_PGM_RSRC2:TGID_X_EN: 1
; COMPUTE_PGM_RSRC2:TGID_Y_EN: 1
; COMPUTE_PGM_RSRC2:TGID_Z_EN: 1
; COMPUTE_PGM_RSRC2:TIDIG_COMP_CNT: 0
	.section	.text._ZL16dequantize_blockILi32ELi2EXadL_ZL15dequantize_q5_0PKvliR15HIP_vector_typeIfLj2EEEE14__hip_bfloat16EvS1_PT2_lllS2_IjLj3EElll,"axG",@progbits,_ZL16dequantize_blockILi32ELi2EXadL_ZL15dequantize_q5_0PKvliR15HIP_vector_typeIfLj2EEEE14__hip_bfloat16EvS1_PT2_lllS2_IjLj3EElll,comdat
	.globl	_ZL16dequantize_blockILi32ELi2EXadL_ZL15dequantize_q5_0PKvliR15HIP_vector_typeIfLj2EEEE14__hip_bfloat16EvS1_PT2_lllS2_IjLj3EElll ; -- Begin function _ZL16dequantize_blockILi32ELi2EXadL_ZL15dequantize_q5_0PKvliR15HIP_vector_typeIfLj2EEEE14__hip_bfloat16EvS1_PT2_lllS2_IjLj3EElll
	.p2align	8
	.type	_ZL16dequantize_blockILi32ELi2EXadL_ZL15dequantize_q5_0PKvliR15HIP_vector_typeIfLj2EEEE14__hip_bfloat16EvS1_PT2_lllS2_IjLj3EElll,@function
_ZL16dequantize_blockILi32ELi2EXadL_ZL15dequantize_q5_0PKvliR15HIP_vector_typeIfLj2EEEE14__hip_bfloat16EvS1_PT2_lllS2_IjLj3EElll: ; @_ZL16dequantize_blockILi32ELi2EXadL_ZL15dequantize_q5_0PKvliR15HIP_vector_typeIfLj2EEEE14__hip_bfloat16EvS1_PT2_lllS2_IjLj3EElll
; %bb.0:
	s_clause 0x1
	s_load_b32 s2, s[0:1], 0x5c
	s_load_b128 s[4:7], s[0:1], 0x10
	v_mov_b32_e32 v1, 0
	s_wait_kmcnt 0x0
	s_and_b32 s2, s2, 0xffff
	s_delay_alu instid0(VALU_DEP_1) | instid1(SALU_CYCLE_1)
	v_mad_co_u64_u32 v[2:3], null, s2, ttmp9, v[0:1]
	s_mov_b32 s2, exec_lo
	v_lshlrev_b64_e32 v[0:1], 1, v[2:3]
	s_delay_alu instid0(VALU_DEP_1)
	v_cmpx_gt_i64_e64 s[4:5], v[0:1]
	s_cbranch_execz .LBB50_7
; %bb.1:
	s_load_b64 s[2:3], s[0:1], 0x20
	s_mov_b32 s21, 0
	s_and_b32 s20, ttmp7, 0xffff
	s_delay_alu instid0(SALU_CYCLE_1)
	v_cmp_le_i64_e64 s8, s[6:7], s[20:21]
	s_and_b32 vcc_lo, exec_lo, s8
	s_cbranch_vccnz .LBB50_7
; %bb.2:
	v_lshrrev_b64 v[0:1], 4, v[2:3]
	s_clause 0x1
	s_load_b96 s[16:18], s[0:1], 0x28
	s_load_b128 s[8:11], s[0:1], 0x0
	s_lshr_b32 s26, ttmp7, 16
	s_mov_b32 s27, s21
	s_add_nc_u64 s[22:23], s[0:1], 0x50
	s_clause 0x1
	s_load_b128 s[12:15], s[0:1], 0x38
	s_load_b64 s[24:25], s[0:1], 0x48
	s_mul_u64 s[0:1], s[6:7], s[26:27]
	v_and_b32_e32 v6, 15, v2
	s_load_b32 s30, s[22:23], 0x4
	s_add_nc_u64 s[0:1], s[0:1], s[20:21]
	v_lshlrev_b64_e32 v[2:3], 6, v[0:1]
	s_wait_alu 0xfffe
	s_mul_u64 s[0:1], s[4:5], s[0:1]
	v_lshlrev_b32_e32 v4, 1, v6
	s_wait_alu 0xfffe
	s_lshl_b64 s[0:1], s[0:1], 1
	s_mov_b32 s31, s21
	v_add_nc_u32_e32 v7, 12, v6
	s_wait_alu 0xfffe
	v_add_co_u32 v2, vcc_lo, s0, v2
	s_delay_alu instid0(VALU_DEP_1)
	v_add_co_ci_u32_e64 v3, null, s1, v3, vcc_lo
	s_mov_b32 s29, s21
	v_add_co_u32 v2, vcc_lo, v2, v4
	s_wait_alu 0xfffd
	v_add_co_ci_u32_e64 v3, null, 0, v3, vcc_lo
	s_wait_kmcnt 0x0
	s_mov_b32 s28, s16
	v_add_co_u32 v2, vcc_lo, s10, v2
	s_wait_alu 0xfffd
	v_add_co_ci_u32_e64 v3, null, s11, v3, vcc_lo
	s_mul_u64 s[0:1], s[4:5], s[30:31]
	v_add_co_u32 v2, vcc_lo, v2, 32
	s_wait_alu 0xfffe
	s_lshl_b64 s[10:11], s[0:1], 1
	v_cmp_gt_i64_e64 s1, s[2:3], s[26:27]
	s_wait_alu 0xfffd
	v_add_co_ci_u32_e64 v3, null, 0, v3, vcc_lo
	s_mul_u64 s[4:5], s[6:7], s[4:5]
	s_sub_co_i32 s16, 0, s18
	s_wait_alu 0xfffe
	s_lshl_b64 s[4:5], s[4:5], 1
	s_mov_b64 s[18:19], s[20:21]
	s_branch .LBB50_4
.LBB50_3:                               ;   in Loop: Header=BB50_4 Depth=1
	s_add_nc_u64 s[18:19], s[18:19], s[30:31]
	v_add_co_u32 v2, vcc_lo, v2, s10
	s_wait_alu 0xfffe
	v_cmp_ge_i64_e64 s0, s[18:19], s[6:7]
	s_wait_alu 0xfffd
	v_add_co_ci_u32_e64 v3, null, s11, v3, vcc_lo
	s_and_b32 vcc_lo, exec_lo, s0
	s_wait_alu 0xfffe
	s_cbranch_vccnz .LBB50_7
.LBB50_4:                               ; =>This Loop Header: Depth=1
                                        ;     Child Loop BB50_6 Depth 2
	s_and_not1_b32 vcc_lo, exec_lo, s1
	s_wait_alu 0xfffe
	s_cbranch_vccnz .LBB50_3
; %bb.5:                                ;   in Loop: Header=BB50_4 Depth=1
	s_load_b32 s34, s[22:23], 0x8
	v_dual_mov_b32 v5, v3 :: v_dual_mov_b32 v4, v2
	s_mul_u64 s[36:37], s[18:19], s[12:13]
	s_mov_b32 s35, s21
	s_mul_u64 s[36:37], s[36:37], 22
	s_mov_b64 s[40:41], s[26:27]
	s_wait_kmcnt 0x0
	s_mul_u64 s[38:39], s[4:5], s[34:35]
.LBB50_6:                               ;   Parent Loop BB50_4 Depth=1
                                        ; =>  This Inner Loop Header: Depth=2
	s_wait_alu 0xfffe
	s_mov_b32 s20, s40
	s_mov_b32 s43, s21
	s_wait_alu 0xfffe
	s_mul_u64 s[44:45], s[28:29], s[20:21]
	s_delay_alu instid0(SALU_CYCLE_1)
	s_add_co_i32 s0, s40, s45
	s_wait_alu 0xfffe
	s_lshr_b32 s42, s0, s17
	s_wait_alu 0xfffe
	s_mul_i32 s0, s16, s42
	s_mul_u64 s[42:43], s[24:25], s[42:43]
	s_wait_alu 0xfffe
	s_add_co_i32 s20, s40, s0
	s_mul_u64 s[42:43], s[42:43], 22
	s_wait_alu 0xfffe
	s_mul_u64 s[44:45], s[14:15], s[20:21]
	s_add_nc_u64 s[42:43], s[8:9], s[42:43]
	s_mul_u64 s[44:45], s[44:45], 22
	s_add_nc_u64 s[40:41], s[40:41], s[34:35]
	s_wait_alu 0xfffe
	s_add_nc_u64 s[42:43], s[42:43], s[44:45]
	v_cmp_ge_i64_e64 s0, s[40:41], s[2:3]
	s_wait_alu 0xfffe
	s_add_nc_u64 s[42:43], s[42:43], s[36:37]
	s_wait_alu 0xfffe
	v_mad_co_u64_u32 v[8:9], null, v0, 22, s[42:43]
	s_delay_alu instid0(VALU_DEP_1) | instskip(NEXT) | instid1(VALU_DEP_2)
	v_mad_co_u64_u32 v[10:11], null, v1, 22, v[9:10]
	v_add_co_u32 v11, vcc_lo, v8, v6
	s_delay_alu instid0(VALU_DEP_2)
	v_mov_b32_e32 v9, v10
	s_wait_alu 0xfffd
	v_add_co_ci_u32_e64 v12, null, 0, v10, vcc_lo
	s_and_b32 vcc_lo, exec_lo, s0
	s_clause 0x2
	global_load_b32 v10, v[8:9], off
	global_load_u16 v8, v[8:9], off offset:4
	global_load_u8 v9, v[11:12], off offset:6
	s_wait_loadcnt 0x1
	v_perm_b32 v8, v10, v8, 0x1000706
	s_wait_loadcnt 0x0
	v_lshrrev_b16 v11, 4, v9
	v_or_b32_e32 v9, -16, v9
	v_cvt_f32_f16_e32 v10, v10
	v_lshrrev_b32_e32 v12, v6, v8
	v_lshrrev_b32_e32 v8, v7, v8
	v_or_b32_e32 v11, -16, v11
	s_delay_alu instid0(VALU_DEP_3) | instskip(NEXT) | instid1(VALU_DEP_2)
	v_lshlrev_b32_e32 v12, 4, v12
	v_bfe_i32 v11, v11, 0, 16
	s_delay_alu instid0(VALU_DEP_2) | instskip(NEXT) | instid1(VALU_DEP_1)
	v_and_b32_e32 v12, 16, v12
	v_add_nc_u32_e32 v9, v9, v12
	s_delay_alu instid0(VALU_DEP_1) | instskip(NEXT) | instid1(VALU_DEP_1)
	v_cvt_f32_i32_e32 v9, v9
	v_dual_mul_f32 v9, v10, v9 :: v_dual_and_b32 v8, 16, v8
	s_delay_alu instid0(VALU_DEP_1) | instskip(NEXT) | instid1(VALU_DEP_2)
	v_add_nc_u32_e32 v8, v8, v11
	v_bfe_u32 v12, v9, 16, 1
	s_delay_alu instid0(VALU_DEP_2) | instskip(SKIP_1) | instid1(VALU_DEP_2)
	v_cvt_f32_i32_e32 v8, v8
	v_or_b32_e32 v13, 0x400000, v9
	v_mul_f32_e32 v8, v10, v8
	s_delay_alu instid0(VALU_DEP_1) | instskip(SKIP_2) | instid1(VALU_DEP_3)
	v_bfe_u32 v10, v8, 16, 1
	v_or_b32_e32 v11, 0x400000, v8
	v_cmp_u_f32_e64 s0, v8, v8
	v_add3_u32 v10, v10, v8, 0x7fff
	v_add3_u32 v8, v12, v9, 0x7fff
	s_wait_alu 0xf1ff
	s_delay_alu instid0(VALU_DEP_2) | instskip(SKIP_2) | instid1(VALU_DEP_1)
	v_cndmask_b32_e64 v10, v10, v11, s0
	v_cmp_u_f32_e64 s0, v9, v9
	s_wait_alu 0xf1ff
	v_cndmask_b32_e64 v8, v8, v13, s0
	s_clause 0x1
	global_store_d16_hi_b16 v[4:5], v8, off offset:-32
	global_store_d16_hi_b16 v[4:5], v10, off
	v_add_co_u32 v4, s0, v4, s38
	s_wait_alu 0xf1ff
	v_add_co_ci_u32_e64 v5, null, s39, v5, s0
	s_wait_alu 0xfffe
	s_cbranch_vccz .LBB50_6
	s_branch .LBB50_3
.LBB50_7:
	s_endpgm
	.section	.rodata,"a",@progbits
	.p2align	6, 0x0
	.amdhsa_kernel _ZL16dequantize_blockILi32ELi2EXadL_ZL15dequantize_q5_0PKvliR15HIP_vector_typeIfLj2EEEE14__hip_bfloat16EvS1_PT2_lllS2_IjLj3EElll
		.amdhsa_group_segment_fixed_size 0
		.amdhsa_private_segment_fixed_size 0
		.amdhsa_kernarg_size 336
		.amdhsa_user_sgpr_count 2
		.amdhsa_user_sgpr_dispatch_ptr 0
		.amdhsa_user_sgpr_queue_ptr 0
		.amdhsa_user_sgpr_kernarg_segment_ptr 1
		.amdhsa_user_sgpr_dispatch_id 0
		.amdhsa_user_sgpr_private_segment_size 0
		.amdhsa_wavefront_size32 1
		.amdhsa_uses_dynamic_stack 0
		.amdhsa_enable_private_segment 0
		.amdhsa_system_sgpr_workgroup_id_x 1
		.amdhsa_system_sgpr_workgroup_id_y 1
		.amdhsa_system_sgpr_workgroup_id_z 1
		.amdhsa_system_sgpr_workgroup_info 0
		.amdhsa_system_vgpr_workitem_id 0
		.amdhsa_next_free_vgpr 14
		.amdhsa_next_free_sgpr 46
		.amdhsa_reserve_vcc 1
		.amdhsa_float_round_mode_32 0
		.amdhsa_float_round_mode_16_64 0
		.amdhsa_float_denorm_mode_32 3
		.amdhsa_float_denorm_mode_16_64 3
		.amdhsa_fp16_overflow 0
		.amdhsa_workgroup_processor_mode 1
		.amdhsa_memory_ordered 1
		.amdhsa_forward_progress 1
		.amdhsa_inst_pref_size 8
		.amdhsa_round_robin_scheduling 0
		.amdhsa_exception_fp_ieee_invalid_op 0
		.amdhsa_exception_fp_denorm_src 0
		.amdhsa_exception_fp_ieee_div_zero 0
		.amdhsa_exception_fp_ieee_overflow 0
		.amdhsa_exception_fp_ieee_underflow 0
		.amdhsa_exception_fp_ieee_inexact 0
		.amdhsa_exception_int_div_zero 0
	.end_amdhsa_kernel
	.section	.text._ZL16dequantize_blockILi32ELi2EXadL_ZL15dequantize_q5_0PKvliR15HIP_vector_typeIfLj2EEEE14__hip_bfloat16EvS1_PT2_lllS2_IjLj3EElll,"axG",@progbits,_ZL16dequantize_blockILi32ELi2EXadL_ZL15dequantize_q5_0PKvliR15HIP_vector_typeIfLj2EEEE14__hip_bfloat16EvS1_PT2_lllS2_IjLj3EElll,comdat
.Lfunc_end50:
	.size	_ZL16dequantize_blockILi32ELi2EXadL_ZL15dequantize_q5_0PKvliR15HIP_vector_typeIfLj2EEEE14__hip_bfloat16EvS1_PT2_lllS2_IjLj3EElll, .Lfunc_end50-_ZL16dequantize_blockILi32ELi2EXadL_ZL15dequantize_q5_0PKvliR15HIP_vector_typeIfLj2EEEE14__hip_bfloat16EvS1_PT2_lllS2_IjLj3EElll
                                        ; -- End function
	.set _ZL16dequantize_blockILi32ELi2EXadL_ZL15dequantize_q5_0PKvliR15HIP_vector_typeIfLj2EEEE14__hip_bfloat16EvS1_PT2_lllS2_IjLj3EElll.num_vgpr, 14
	.set _ZL16dequantize_blockILi32ELi2EXadL_ZL15dequantize_q5_0PKvliR15HIP_vector_typeIfLj2EEEE14__hip_bfloat16EvS1_PT2_lllS2_IjLj3EElll.num_agpr, 0
	.set _ZL16dequantize_blockILi32ELi2EXadL_ZL15dequantize_q5_0PKvliR15HIP_vector_typeIfLj2EEEE14__hip_bfloat16EvS1_PT2_lllS2_IjLj3EElll.numbered_sgpr, 46
	.set _ZL16dequantize_blockILi32ELi2EXadL_ZL15dequantize_q5_0PKvliR15HIP_vector_typeIfLj2EEEE14__hip_bfloat16EvS1_PT2_lllS2_IjLj3EElll.num_named_barrier, 0
	.set _ZL16dequantize_blockILi32ELi2EXadL_ZL15dequantize_q5_0PKvliR15HIP_vector_typeIfLj2EEEE14__hip_bfloat16EvS1_PT2_lllS2_IjLj3EElll.private_seg_size, 0
	.set _ZL16dequantize_blockILi32ELi2EXadL_ZL15dequantize_q5_0PKvliR15HIP_vector_typeIfLj2EEEE14__hip_bfloat16EvS1_PT2_lllS2_IjLj3EElll.uses_vcc, 1
	.set _ZL16dequantize_blockILi32ELi2EXadL_ZL15dequantize_q5_0PKvliR15HIP_vector_typeIfLj2EEEE14__hip_bfloat16EvS1_PT2_lllS2_IjLj3EElll.uses_flat_scratch, 0
	.set _ZL16dequantize_blockILi32ELi2EXadL_ZL15dequantize_q5_0PKvliR15HIP_vector_typeIfLj2EEEE14__hip_bfloat16EvS1_PT2_lllS2_IjLj3EElll.has_dyn_sized_stack, 0
	.set _ZL16dequantize_blockILi32ELi2EXadL_ZL15dequantize_q5_0PKvliR15HIP_vector_typeIfLj2EEEE14__hip_bfloat16EvS1_PT2_lllS2_IjLj3EElll.has_recursion, 0
	.set _ZL16dequantize_blockILi32ELi2EXadL_ZL15dequantize_q5_0PKvliR15HIP_vector_typeIfLj2EEEE14__hip_bfloat16EvS1_PT2_lllS2_IjLj3EElll.has_indirect_call, 0
	.section	.AMDGPU.csdata,"",@progbits
; Kernel info:
; codeLenInByte = 948
; TotalNumSgprs: 48
; NumVgprs: 14
; ScratchSize: 0
; MemoryBound: 0
; FloatMode: 240
; IeeeMode: 1
; LDSByteSize: 0 bytes/workgroup (compile time only)
; SGPRBlocks: 0
; VGPRBlocks: 1
; NumSGPRsForWavesPerEU: 48
; NumVGPRsForWavesPerEU: 14
; Occupancy: 16
; WaveLimiterHint : 0
; COMPUTE_PGM_RSRC2:SCRATCH_EN: 0
; COMPUTE_PGM_RSRC2:USER_SGPR: 2
; COMPUTE_PGM_RSRC2:TRAP_HANDLER: 0
; COMPUTE_PGM_RSRC2:TGID_X_EN: 1
; COMPUTE_PGM_RSRC2:TGID_Y_EN: 1
; COMPUTE_PGM_RSRC2:TGID_Z_EN: 1
; COMPUTE_PGM_RSRC2:TIDIG_COMP_CNT: 0
	.section	.text._ZL16dequantize_blockILi32ELi2EXadL_ZL15dequantize_q5_1PKvliR15HIP_vector_typeIfLj2EEEE14__hip_bfloat16EvS1_PT2_lllS2_IjLj3EElll,"axG",@progbits,_ZL16dequantize_blockILi32ELi2EXadL_ZL15dequantize_q5_1PKvliR15HIP_vector_typeIfLj2EEEE14__hip_bfloat16EvS1_PT2_lllS2_IjLj3EElll,comdat
	.globl	_ZL16dequantize_blockILi32ELi2EXadL_ZL15dequantize_q5_1PKvliR15HIP_vector_typeIfLj2EEEE14__hip_bfloat16EvS1_PT2_lllS2_IjLj3EElll ; -- Begin function _ZL16dequantize_blockILi32ELi2EXadL_ZL15dequantize_q5_1PKvliR15HIP_vector_typeIfLj2EEEE14__hip_bfloat16EvS1_PT2_lllS2_IjLj3EElll
	.p2align	8
	.type	_ZL16dequantize_blockILi32ELi2EXadL_ZL15dequantize_q5_1PKvliR15HIP_vector_typeIfLj2EEEE14__hip_bfloat16EvS1_PT2_lllS2_IjLj3EElll,@function
_ZL16dequantize_blockILi32ELi2EXadL_ZL15dequantize_q5_1PKvliR15HIP_vector_typeIfLj2EEEE14__hip_bfloat16EvS1_PT2_lllS2_IjLj3EElll: ; @_ZL16dequantize_blockILi32ELi2EXadL_ZL15dequantize_q5_1PKvliR15HIP_vector_typeIfLj2EEEE14__hip_bfloat16EvS1_PT2_lllS2_IjLj3EElll
; %bb.0:
	s_clause 0x1
	s_load_b32 s2, s[0:1], 0x5c
	s_load_b128 s[4:7], s[0:1], 0x10
	v_mov_b32_e32 v1, 0
	s_wait_kmcnt 0x0
	s_and_b32 s2, s2, 0xffff
	s_delay_alu instid0(VALU_DEP_1) | instid1(SALU_CYCLE_1)
	v_mad_co_u64_u32 v[2:3], null, s2, ttmp9, v[0:1]
	s_mov_b32 s2, exec_lo
	v_lshlrev_b64_e32 v[0:1], 1, v[2:3]
	s_delay_alu instid0(VALU_DEP_1)
	v_cmpx_gt_i64_e64 s[4:5], v[0:1]
	s_cbranch_execz .LBB51_7
; %bb.1:
	s_load_b64 s[2:3], s[0:1], 0x20
	s_mov_b32 s21, 0
	s_and_b32 s20, ttmp7, 0xffff
	s_delay_alu instid0(SALU_CYCLE_1)
	v_cmp_le_i64_e64 s8, s[6:7], s[20:21]
	s_and_b32 vcc_lo, exec_lo, s8
	s_cbranch_vccnz .LBB51_7
; %bb.2:
	v_lshrrev_b64 v[0:1], 4, v[2:3]
	s_clause 0x1
	s_load_b96 s[16:18], s[0:1], 0x28
	s_load_b128 s[8:11], s[0:1], 0x0
	s_lshr_b32 s26, ttmp7, 16
	s_mov_b32 s27, s21
	s_add_nc_u64 s[22:23], s[0:1], 0x50
	s_clause 0x1
	s_load_b128 s[12:15], s[0:1], 0x38
	s_load_b64 s[24:25], s[0:1], 0x48
	s_mul_u64 s[0:1], s[6:7], s[26:27]
	v_and_b32_e32 v6, 15, v2
	s_load_b32 s30, s[22:23], 0x4
	s_add_nc_u64 s[0:1], s[0:1], s[20:21]
	v_lshlrev_b64_e32 v[2:3], 6, v[0:1]
	s_wait_alu 0xfffe
	s_mul_u64 s[0:1], s[4:5], s[0:1]
	v_lshlrev_b32_e32 v4, 1, v6
	s_wait_alu 0xfffe
	s_lshl_b64 s[0:1], s[0:1], 1
	s_mov_b32 s31, s21
	v_add_nc_u32_e32 v7, 12, v6
	s_wait_alu 0xfffe
	v_add_co_u32 v2, vcc_lo, s0, v2
	s_delay_alu instid0(VALU_DEP_1)
	v_add_co_ci_u32_e64 v3, null, s1, v3, vcc_lo
	s_mov_b32 s29, s21
	v_add_co_u32 v2, vcc_lo, v2, v4
	s_wait_alu 0xfffd
	v_add_co_ci_u32_e64 v3, null, 0, v3, vcc_lo
	s_wait_kmcnt 0x0
	s_mov_b32 s28, s16
	v_add_co_u32 v2, vcc_lo, s10, v2
	s_wait_alu 0xfffd
	v_add_co_ci_u32_e64 v3, null, s11, v3, vcc_lo
	s_mul_u64 s[0:1], s[4:5], s[30:31]
	v_add_co_u32 v2, vcc_lo, v2, 32
	s_wait_alu 0xfffe
	s_lshl_b64 s[10:11], s[0:1], 1
	v_cmp_gt_i64_e64 s1, s[2:3], s[26:27]
	s_wait_alu 0xfffd
	v_add_co_ci_u32_e64 v3, null, 0, v3, vcc_lo
	s_mul_u64 s[4:5], s[6:7], s[4:5]
	s_sub_co_i32 s16, 0, s18
	s_wait_alu 0xfffe
	s_lshl_b64 s[4:5], s[4:5], 1
	s_mov_b64 s[18:19], s[20:21]
	s_branch .LBB51_4
.LBB51_3:                               ;   in Loop: Header=BB51_4 Depth=1
	s_add_nc_u64 s[18:19], s[18:19], s[30:31]
	v_add_co_u32 v2, vcc_lo, v2, s10
	s_wait_alu 0xfffe
	v_cmp_ge_i64_e64 s0, s[18:19], s[6:7]
	s_wait_alu 0xfffd
	v_add_co_ci_u32_e64 v3, null, s11, v3, vcc_lo
	s_and_b32 vcc_lo, exec_lo, s0
	s_wait_alu 0xfffe
	s_cbranch_vccnz .LBB51_7
.LBB51_4:                               ; =>This Loop Header: Depth=1
                                        ;     Child Loop BB51_6 Depth 2
	s_and_not1_b32 vcc_lo, exec_lo, s1
	s_wait_alu 0xfffe
	s_cbranch_vccnz .LBB51_3
; %bb.5:                                ;   in Loop: Header=BB51_4 Depth=1
	s_load_b32 s34, s[22:23], 0x8
	v_dual_mov_b32 v5, v3 :: v_dual_mov_b32 v4, v2
	s_mul_u64 s[36:37], s[18:19], s[12:13]
	s_mov_b32 s35, s21
	s_mul_u64 s[36:37], s[36:37], 24
	s_mov_b64 s[40:41], s[26:27]
	s_wait_kmcnt 0x0
	s_mul_u64 s[38:39], s[4:5], s[34:35]
.LBB51_6:                               ;   Parent Loop BB51_4 Depth=1
                                        ; =>  This Inner Loop Header: Depth=2
	s_wait_alu 0xfffe
	s_mov_b32 s20, s40
	s_mov_b32 s43, s21
	s_wait_alu 0xfffe
	s_mul_u64 s[44:45], s[28:29], s[20:21]
	s_delay_alu instid0(SALU_CYCLE_1)
	s_add_co_i32 s0, s40, s45
	s_wait_alu 0xfffe
	s_lshr_b32 s42, s0, s17
	s_wait_alu 0xfffe
	s_mul_i32 s0, s16, s42
	s_mul_u64 s[42:43], s[24:25], s[42:43]
	s_wait_alu 0xfffe
	s_add_co_i32 s20, s40, s0
	s_mul_u64 s[42:43], s[42:43], 24
	s_wait_alu 0xfffe
	s_mul_u64 s[44:45], s[14:15], s[20:21]
	s_add_nc_u64 s[42:43], s[8:9], s[42:43]
	s_mul_u64 s[44:45], s[44:45], 24
	s_add_nc_u64 s[40:41], s[40:41], s[34:35]
	s_wait_alu 0xfffe
	s_add_nc_u64 s[42:43], s[42:43], s[44:45]
	v_cmp_ge_i64_e64 s0, s[40:41], s[2:3]
	s_wait_alu 0xfffe
	s_add_nc_u64 s[42:43], s[42:43], s[36:37]
	s_wait_alu 0xfffe
	v_mad_co_u64_u32 v[8:9], null, v0, 24, s[42:43]
	s_delay_alu instid0(VALU_DEP_1) | instskip(NEXT) | instid1(VALU_DEP_2)
	v_mad_co_u64_u32 v[10:11], null, v1, 24, v[9:10]
	v_add_co_u32 v11, vcc_lo, v8, v6
	s_delay_alu instid0(VALU_DEP_2)
	v_mov_b32_e32 v9, v10
	s_wait_alu 0xfffd
	v_add_co_ci_u32_e64 v12, null, 0, v10, vcc_lo
	s_and_b32 vcc_lo, exec_lo, s0
	s_clause 0x1
	global_load_b64 v[8:9], v[8:9], off
	global_load_u8 v10, v[11:12], off offset:8
	s_wait_loadcnt 0x1
	v_lshrrev_b32_e32 v11, v6, v9
	v_lshrrev_b32_e32 v9, v7, v9
	s_wait_loadcnt 0x0
	v_lshrrev_b16 v12, 4, v10
	v_and_b32_e32 v10, 15, v10
	v_lshlrev_b32_e32 v11, 4, v11
	s_delay_alu instid0(VALU_DEP_3) | instskip(NEXT) | instid1(VALU_DEP_2)
	v_and_or_b32 v9, v9, 16, v12
	v_and_or_b32 v10, v11, 16, v10
	s_delay_alu instid0(VALU_DEP_2) | instskip(NEXT) | instid1(VALU_DEP_2)
	v_cvt_f32_ubyte0_e32 v9, v9
	v_cvt_f32_ubyte0_e32 v10, v10
	s_delay_alu instid0(VALU_DEP_2) | instskip(NEXT) | instid1(VALU_DEP_2)
	v_fma_mix_f32 v9, v8, v9, v8 op_sel:[0,0,1] op_sel_hi:[1,0,1]
	v_fma_mix_f32 v8, v8, v10, v8 op_sel:[0,0,1] op_sel_hi:[1,0,1]
	s_delay_alu instid0(VALU_DEP_2) | instskip(SKIP_2) | instid1(VALU_DEP_4)
	v_bfe_u32 v10, v9, 16, 1
	v_or_b32_e32 v11, 0x400000, v9
	v_cmp_u_f32_e64 s0, v9, v9
	v_bfe_u32 v12, v8, 16, 1
	v_or_b32_e32 v13, 0x400000, v8
	v_add3_u32 v10, v10, v9, 0x7fff
	s_delay_alu instid0(VALU_DEP_3) | instskip(SKIP_1) | instid1(VALU_DEP_2)
	v_add3_u32 v9, v12, v8, 0x7fff
	s_wait_alu 0xf1ff
	v_cndmask_b32_e64 v10, v10, v11, s0
	v_cmp_u_f32_e64 s0, v8, v8
	s_wait_alu 0xf1ff
	s_delay_alu instid0(VALU_DEP_1)
	v_cndmask_b32_e64 v8, v9, v13, s0
	s_clause 0x1
	global_store_d16_hi_b16 v[4:5], v8, off offset:-32
	global_store_d16_hi_b16 v[4:5], v10, off
	v_add_co_u32 v4, s0, v4, s38
	s_wait_alu 0xf1ff
	v_add_co_ci_u32_e64 v5, null, s39, v5, s0
	s_wait_alu 0xfffe
	s_cbranch_vccz .LBB51_6
	s_branch .LBB51_3
.LBB51_7:
	s_endpgm
	.section	.rodata,"a",@progbits
	.p2align	6, 0x0
	.amdhsa_kernel _ZL16dequantize_blockILi32ELi2EXadL_ZL15dequantize_q5_1PKvliR15HIP_vector_typeIfLj2EEEE14__hip_bfloat16EvS1_PT2_lllS2_IjLj3EElll
		.amdhsa_group_segment_fixed_size 0
		.amdhsa_private_segment_fixed_size 0
		.amdhsa_kernarg_size 336
		.amdhsa_user_sgpr_count 2
		.amdhsa_user_sgpr_dispatch_ptr 0
		.amdhsa_user_sgpr_queue_ptr 0
		.amdhsa_user_sgpr_kernarg_segment_ptr 1
		.amdhsa_user_sgpr_dispatch_id 0
		.amdhsa_user_sgpr_private_segment_size 0
		.amdhsa_wavefront_size32 1
		.amdhsa_uses_dynamic_stack 0
		.amdhsa_enable_private_segment 0
		.amdhsa_system_sgpr_workgroup_id_x 1
		.amdhsa_system_sgpr_workgroup_id_y 1
		.amdhsa_system_sgpr_workgroup_id_z 1
		.amdhsa_system_sgpr_workgroup_info 0
		.amdhsa_system_vgpr_workitem_id 0
		.amdhsa_next_free_vgpr 14
		.amdhsa_next_free_sgpr 46
		.amdhsa_reserve_vcc 1
		.amdhsa_float_round_mode_32 0
		.amdhsa_float_round_mode_16_64 0
		.amdhsa_float_denorm_mode_32 3
		.amdhsa_float_denorm_mode_16_64 3
		.amdhsa_fp16_overflow 0
		.amdhsa_workgroup_processor_mode 1
		.amdhsa_memory_ordered 1
		.amdhsa_forward_progress 1
		.amdhsa_inst_pref_size 8
		.amdhsa_round_robin_scheduling 0
		.amdhsa_exception_fp_ieee_invalid_op 0
		.amdhsa_exception_fp_denorm_src 0
		.amdhsa_exception_fp_ieee_div_zero 0
		.amdhsa_exception_fp_ieee_overflow 0
		.amdhsa_exception_fp_ieee_underflow 0
		.amdhsa_exception_fp_ieee_inexact 0
		.amdhsa_exception_int_div_zero 0
	.end_amdhsa_kernel
	.section	.text._ZL16dequantize_blockILi32ELi2EXadL_ZL15dequantize_q5_1PKvliR15HIP_vector_typeIfLj2EEEE14__hip_bfloat16EvS1_PT2_lllS2_IjLj3EElll,"axG",@progbits,_ZL16dequantize_blockILi32ELi2EXadL_ZL15dequantize_q5_1PKvliR15HIP_vector_typeIfLj2EEEE14__hip_bfloat16EvS1_PT2_lllS2_IjLj3EElll,comdat
.Lfunc_end51:
	.size	_ZL16dequantize_blockILi32ELi2EXadL_ZL15dequantize_q5_1PKvliR15HIP_vector_typeIfLj2EEEE14__hip_bfloat16EvS1_PT2_lllS2_IjLj3EElll, .Lfunc_end51-_ZL16dequantize_blockILi32ELi2EXadL_ZL15dequantize_q5_1PKvliR15HIP_vector_typeIfLj2EEEE14__hip_bfloat16EvS1_PT2_lllS2_IjLj3EElll
                                        ; -- End function
	.set _ZL16dequantize_blockILi32ELi2EXadL_ZL15dequantize_q5_1PKvliR15HIP_vector_typeIfLj2EEEE14__hip_bfloat16EvS1_PT2_lllS2_IjLj3EElll.num_vgpr, 14
	.set _ZL16dequantize_blockILi32ELi2EXadL_ZL15dequantize_q5_1PKvliR15HIP_vector_typeIfLj2EEEE14__hip_bfloat16EvS1_PT2_lllS2_IjLj3EElll.num_agpr, 0
	.set _ZL16dequantize_blockILi32ELi2EXadL_ZL15dequantize_q5_1PKvliR15HIP_vector_typeIfLj2EEEE14__hip_bfloat16EvS1_PT2_lllS2_IjLj3EElll.numbered_sgpr, 46
	.set _ZL16dequantize_blockILi32ELi2EXadL_ZL15dequantize_q5_1PKvliR15HIP_vector_typeIfLj2EEEE14__hip_bfloat16EvS1_PT2_lllS2_IjLj3EElll.num_named_barrier, 0
	.set _ZL16dequantize_blockILi32ELi2EXadL_ZL15dequantize_q5_1PKvliR15HIP_vector_typeIfLj2EEEE14__hip_bfloat16EvS1_PT2_lllS2_IjLj3EElll.private_seg_size, 0
	.set _ZL16dequantize_blockILi32ELi2EXadL_ZL15dequantize_q5_1PKvliR15HIP_vector_typeIfLj2EEEE14__hip_bfloat16EvS1_PT2_lllS2_IjLj3EElll.uses_vcc, 1
	.set _ZL16dequantize_blockILi32ELi2EXadL_ZL15dequantize_q5_1PKvliR15HIP_vector_typeIfLj2EEEE14__hip_bfloat16EvS1_PT2_lllS2_IjLj3EElll.uses_flat_scratch, 0
	.set _ZL16dequantize_blockILi32ELi2EXadL_ZL15dequantize_q5_1PKvliR15HIP_vector_typeIfLj2EEEE14__hip_bfloat16EvS1_PT2_lllS2_IjLj3EElll.has_dyn_sized_stack, 0
	.set _ZL16dequantize_blockILi32ELi2EXadL_ZL15dequantize_q5_1PKvliR15HIP_vector_typeIfLj2EEEE14__hip_bfloat16EvS1_PT2_lllS2_IjLj3EElll.has_recursion, 0
	.set _ZL16dequantize_blockILi32ELi2EXadL_ZL15dequantize_q5_1PKvliR15HIP_vector_typeIfLj2EEEE14__hip_bfloat16EvS1_PT2_lllS2_IjLj3EElll.has_indirect_call, 0
	.section	.AMDGPU.csdata,"",@progbits
; Kernel info:
; codeLenInByte = 912
; TotalNumSgprs: 48
; NumVgprs: 14
; ScratchSize: 0
; MemoryBound: 0
; FloatMode: 240
; IeeeMode: 1
; LDSByteSize: 0 bytes/workgroup (compile time only)
; SGPRBlocks: 0
; VGPRBlocks: 1
; NumSGPRsForWavesPerEU: 48
; NumVGPRsForWavesPerEU: 14
; Occupancy: 16
; WaveLimiterHint : 0
; COMPUTE_PGM_RSRC2:SCRATCH_EN: 0
; COMPUTE_PGM_RSRC2:USER_SGPR: 2
; COMPUTE_PGM_RSRC2:TRAP_HANDLER: 0
; COMPUTE_PGM_RSRC2:TGID_X_EN: 1
; COMPUTE_PGM_RSRC2:TGID_Y_EN: 1
; COMPUTE_PGM_RSRC2:TGID_Z_EN: 1
; COMPUTE_PGM_RSRC2:TIDIG_COMP_CNT: 0
	.section	.text._ZL16dequantize_blockILi32ELi1EXadL_ZL15dequantize_q8_0PKvliR15HIP_vector_typeIfLj2EEEE14__hip_bfloat16EvS1_PT2_lllS2_IjLj3EElll,"axG",@progbits,_ZL16dequantize_blockILi32ELi1EXadL_ZL15dequantize_q8_0PKvliR15HIP_vector_typeIfLj2EEEE14__hip_bfloat16EvS1_PT2_lllS2_IjLj3EElll,comdat
	.globl	_ZL16dequantize_blockILi32ELi1EXadL_ZL15dequantize_q8_0PKvliR15HIP_vector_typeIfLj2EEEE14__hip_bfloat16EvS1_PT2_lllS2_IjLj3EElll ; -- Begin function _ZL16dequantize_blockILi32ELi1EXadL_ZL15dequantize_q8_0PKvliR15HIP_vector_typeIfLj2EEEE14__hip_bfloat16EvS1_PT2_lllS2_IjLj3EElll
	.p2align	8
	.type	_ZL16dequantize_blockILi32ELi1EXadL_ZL15dequantize_q8_0PKvliR15HIP_vector_typeIfLj2EEEE14__hip_bfloat16EvS1_PT2_lllS2_IjLj3EElll,@function
_ZL16dequantize_blockILi32ELi1EXadL_ZL15dequantize_q8_0PKvliR15HIP_vector_typeIfLj2EEEE14__hip_bfloat16EvS1_PT2_lllS2_IjLj3EElll: ; @_ZL16dequantize_blockILi32ELi1EXadL_ZL15dequantize_q8_0PKvliR15HIP_vector_typeIfLj2EEEE14__hip_bfloat16EvS1_PT2_lllS2_IjLj3EElll
; %bb.0:
	s_clause 0x1
	s_load_b32 s19, s[0:1], 0x5c
	s_load_b128 s[4:7], s[0:1], 0x10
	v_mov_b32_e32 v1, 0
	s_wait_kmcnt 0x0
	s_and_b32 s2, s19, 0xffff
	s_delay_alu instid0(VALU_DEP_1) | instid1(SALU_CYCLE_1)
	v_mad_co_u64_u32 v[4:5], null, s2, ttmp9, v[0:1]
	s_mov_b32 s2, exec_lo
	v_lshlrev_b64_e32 v[2:3], 1, v[4:5]
	s_delay_alu instid0(VALU_DEP_1)
	v_cmpx_gt_i64_e64 s[4:5], v[2:3]
	s_cbranch_execz .LBB52_7
; %bb.1:
	s_load_b64 s[2:3], s[0:1], 0x20
	s_mov_b32 s21, 0
	s_and_b32 s20, ttmp7, 0xffff
	s_delay_alu instid0(SALU_CYCLE_1)
	v_cmp_le_i64_e64 s8, s[6:7], s[20:21]
	s_and_b32 vcc_lo, exec_lo, s8
	s_cbranch_vccnz .LBB52_7
; %bb.2:
	s_clause 0x1
	s_load_b96 s[16:18], s[0:1], 0x28
	s_load_b128 s[8:11], s[0:1], 0x0
	s_add_nc_u64 s[22:23], s[0:1], 0x50
	s_clause 0x1
	s_load_b128 s[12:15], s[0:1], 0x38
	s_load_b64 s[24:25], s[0:1], 0x48
	s_mul_i32 s0, ttmp9, s19
	s_wait_alu 0xfffe
	s_lshr_b32 s26, ttmp7, 16
	v_add_nc_u16 v3, s0, v0
	v_lshrrev_b64 v[0:1], 4, v[4:5]
	s_mov_b32 s27, s21
	s_load_b32 s28, s[22:23], 0x4
	s_mul_u64 s[0:1], s[6:7], s[26:27]
	v_and_b32_e32 v5, 15, v3
	s_wait_alu 0xfffe
	s_add_nc_u64 s[0:1], s[0:1], s[20:21]
	v_lshlrev_b64_e32 v[3:4], 6, v[0:1]
	s_wait_alu 0xfffe
	s_mul_u64 s[0:1], s[4:5], s[0:1]
	v_and_b32_e32 v6, 30, v2
	s_wait_alu 0xfffe
	s_lshl_b64 s[0:1], s[0:1], 1
	v_lshlrev_b32_e32 v5, 2, v5
	s_mov_b32 s29, s21
	s_wait_alu 0xfffe
	v_add_co_u32 v3, vcc_lo, s0, v3
	s_delay_alu instid0(VALU_DEP_1) | instskip(SKIP_2) | instid1(VALU_DEP_2)
	v_add_co_ci_u32_e64 v4, null, s1, v4, vcc_lo
	s_wait_kmcnt 0x0
	s_mov_b32 s30, s16
	v_add_co_u32 v2, vcc_lo, v3, v5
	s_wait_alu 0xfffd
	v_add_co_ci_u32_e64 v3, null, 0, v4, vcc_lo
	v_cmp_gt_i64_e64 s16, s[2:3], s[26:27]
	s_delay_alu instid0(VALU_DEP_3) | instskip(SKIP_1) | instid1(VALU_DEP_3)
	v_add_co_u32 v2, vcc_lo, s10, v2
	s_wait_alu 0xfffd
	v_add_co_ci_u32_e64 v3, null, s11, v3, vcc_lo
	s_mul_u64 s[0:1], s[4:5], s[28:29]
	v_add_co_u32 v2, vcc_lo, v2, 2
	s_wait_alu 0xfffd
	v_add_co_ci_u32_e64 v3, null, 0, v3, vcc_lo
	s_wait_alu 0xfffe
	s_lshl_b64 s[10:11], s[0:1], 1
	s_mul_u64 s[0:1], s[6:7], s[4:5]
	s_mov_b32 s31, s21
	s_wait_alu 0xfffe
	s_lshl_b64 s[4:5], s[0:1], 1
	s_sub_co_i32 s33, 0, s18
	s_mov_b64 s[18:19], s[20:21]
	s_branch .LBB52_4
.LBB52_3:                               ;   in Loop: Header=BB52_4 Depth=1
	s_add_nc_u64 s[18:19], s[18:19], s[28:29]
	v_add_co_u32 v2, vcc_lo, v2, s10
	s_wait_alu 0xfffe
	v_cmp_ge_i64_e64 s0, s[18:19], s[6:7]
	s_wait_alu 0xfffd
	v_add_co_ci_u32_e64 v3, null, s11, v3, vcc_lo
	s_and_b32 vcc_lo, exec_lo, s0
	s_wait_alu 0xfffe
	s_cbranch_vccnz .LBB52_7
.LBB52_4:                               ; =>This Loop Header: Depth=1
                                        ;     Child Loop BB52_6 Depth 2
	s_and_not1_b32 vcc_lo, exec_lo, s16
	s_wait_alu 0xfffe
	s_cbranch_vccnz .LBB52_3
; %bb.5:                                ;   in Loop: Header=BB52_4 Depth=1
	s_load_b32 s34, s[22:23], 0x8
	v_dual_mov_b32 v5, v3 :: v_dual_mov_b32 v4, v2
	s_mul_u64 s[0:1], s[18:19], s[12:13]
	s_mov_b32 s35, s21
	s_wait_alu 0xfffe
	s_mul_u64 s[36:37], s[0:1], 34
	s_mov_b64 s[40:41], s[26:27]
	s_wait_kmcnt 0x0
	s_mul_u64 s[38:39], s[4:5], s[34:35]
.LBB52_6:                               ;   Parent Loop BB52_4 Depth=1
                                        ; =>  This Inner Loop Header: Depth=2
	s_wait_alu 0xfffe
	s_mov_b32 s20, s40
	s_mov_b32 s1, s21
	s_wait_alu 0xfffe
	s_mul_u64 s[42:43], s[30:31], s[20:21]
	s_delay_alu instid0(SALU_CYCLE_1)
	s_add_co_i32 s0, s40, s43
	s_wait_alu 0xfffe
	s_lshr_b32 s0, s0, s17
	s_wait_alu 0xfffe
	s_mul_i32 s20, s33, s0
	s_mul_u64 s[0:1], s[24:25], s[0:1]
	s_wait_alu 0xfffe
	s_add_co_i32 s20, s40, s20
	s_mul_u64 s[0:1], s[0:1], 34
	s_wait_alu 0xfffe
	s_mul_u64 s[42:43], s[14:15], s[20:21]
	s_add_nc_u64 s[0:1], s[8:9], s[0:1]
	s_mul_u64 s[42:43], s[42:43], 34
	s_add_nc_u64 s[40:41], s[40:41], s[34:35]
	s_wait_alu 0xfffe
	s_add_nc_u64 s[0:1], s[0:1], s[42:43]
	s_wait_alu 0xfffe
	;; [unrolled: 2-line block ×3, first 2 shown]
	v_mad_co_u64_u32 v[7:8], null, v0, 34, s[0:1]
	v_cmp_ge_i64_e64 s0, s[40:41], s[2:3]
	s_delay_alu instid0(VALU_DEP_2) | instskip(NEXT) | instid1(VALU_DEP_3)
	v_mad_co_u64_u32 v[8:9], null, v1, 34, v[8:9]
	v_add_co_u32 v9, vcc_lo, v7, v6
	s_wait_alu 0xfffd
	s_delay_alu instid0(VALU_DEP_2)
	v_add_co_ci_u32_e64 v10, null, 0, v8, vcc_lo
	s_and_b32 vcc_lo, exec_lo, s0
	s_clause 0x1
	global_load_u16 v9, v[9:10], off offset:2
	global_load_u16 v7, v[7:8], off
	s_wait_loadcnt 0x1
	v_bfe_i32 v8, v9, 0, 8
	v_ashrrev_i16 v9, 8, v9
	s_wait_loadcnt 0x0
	v_cvt_f32_f16_e32 v7, v7
	s_delay_alu instid0(VALU_DEP_3) | instskip(NEXT) | instid1(VALU_DEP_3)
	v_bfe_i32 v8, v8, 0, 16
	v_bfe_i32 v9, v9, 0, 16
	s_delay_alu instid0(VALU_DEP_2) | instskip(NEXT) | instid1(VALU_DEP_2)
	v_cvt_f32_i32_e32 v8, v8
	v_cvt_f32_i32_e32 v9, v9
	s_delay_alu instid0(VALU_DEP_2) | instskip(NEXT) | instid1(VALU_DEP_2)
	v_mul_f32_e32 v8, v7, v8
	v_mul_f32_e32 v7, v7, v9
	s_delay_alu instid0(VALU_DEP_2) | instskip(NEXT) | instid1(VALU_DEP_2)
	v_bfe_u32 v9, v8, 16, 1
	v_bfe_u32 v10, v7, 16, 1
	v_or_b32_e32 v11, 0x400000, v8
	v_or_b32_e32 v12, 0x400000, v7
	v_cmp_u_f32_e64 s0, v7, v7
	v_add3_u32 v9, v9, v8, 0x7fff
	v_add3_u32 v10, v10, v7, 0x7fff
	v_cmp_u_f32_e64 s1, v8, v8
	s_wait_alu 0xf1ff
	s_delay_alu instid0(VALU_DEP_2) | instskip(NEXT) | instid1(VALU_DEP_2)
	v_cndmask_b32_e64 v8, v10, v12, s0
	v_cndmask_b32_e64 v7, v9, v11, s1
	s_delay_alu instid0(VALU_DEP_1)
	v_perm_b32 v7, v8, v7, 0x7060302
	global_store_b32 v[4:5], v7, off offset:-2
	v_add_co_u32 v4, s0, v4, s38
	s_wait_alu 0xf1ff
	v_add_co_ci_u32_e64 v5, null, s39, v5, s0
	s_wait_alu 0xfffe
	s_cbranch_vccz .LBB52_6
	s_branch .LBB52_3
.LBB52_7:
	s_endpgm
	.section	.rodata,"a",@progbits
	.p2align	6, 0x0
	.amdhsa_kernel _ZL16dequantize_blockILi32ELi1EXadL_ZL15dequantize_q8_0PKvliR15HIP_vector_typeIfLj2EEEE14__hip_bfloat16EvS1_PT2_lllS2_IjLj3EElll
		.amdhsa_group_segment_fixed_size 0
		.amdhsa_private_segment_fixed_size 0
		.amdhsa_kernarg_size 336
		.amdhsa_user_sgpr_count 2
		.amdhsa_user_sgpr_dispatch_ptr 0
		.amdhsa_user_sgpr_queue_ptr 0
		.amdhsa_user_sgpr_kernarg_segment_ptr 1
		.amdhsa_user_sgpr_dispatch_id 0
		.amdhsa_user_sgpr_private_segment_size 0
		.amdhsa_wavefront_size32 1
		.amdhsa_uses_dynamic_stack 0
		.amdhsa_enable_private_segment 0
		.amdhsa_system_sgpr_workgroup_id_x 1
		.amdhsa_system_sgpr_workgroup_id_y 1
		.amdhsa_system_sgpr_workgroup_id_z 1
		.amdhsa_system_sgpr_workgroup_info 0
		.amdhsa_system_vgpr_workitem_id 0
		.amdhsa_next_free_vgpr 13
		.amdhsa_next_free_sgpr 44
		.amdhsa_reserve_vcc 1
		.amdhsa_float_round_mode_32 0
		.amdhsa_float_round_mode_16_64 0
		.amdhsa_float_denorm_mode_32 3
		.amdhsa_float_denorm_mode_16_64 3
		.amdhsa_fp16_overflow 0
		.amdhsa_workgroup_processor_mode 1
		.amdhsa_memory_ordered 1
		.amdhsa_forward_progress 1
		.amdhsa_inst_pref_size 8
		.amdhsa_round_robin_scheduling 0
		.amdhsa_exception_fp_ieee_invalid_op 0
		.amdhsa_exception_fp_denorm_src 0
		.amdhsa_exception_fp_ieee_div_zero 0
		.amdhsa_exception_fp_ieee_overflow 0
		.amdhsa_exception_fp_ieee_underflow 0
		.amdhsa_exception_fp_ieee_inexact 0
		.amdhsa_exception_int_div_zero 0
	.end_amdhsa_kernel
	.section	.text._ZL16dequantize_blockILi32ELi1EXadL_ZL15dequantize_q8_0PKvliR15HIP_vector_typeIfLj2EEEE14__hip_bfloat16EvS1_PT2_lllS2_IjLj3EElll,"axG",@progbits,_ZL16dequantize_blockILi32ELi1EXadL_ZL15dequantize_q8_0PKvliR15HIP_vector_typeIfLj2EEEE14__hip_bfloat16EvS1_PT2_lllS2_IjLj3EElll,comdat
.Lfunc_end52:
	.size	_ZL16dequantize_blockILi32ELi1EXadL_ZL15dequantize_q8_0PKvliR15HIP_vector_typeIfLj2EEEE14__hip_bfloat16EvS1_PT2_lllS2_IjLj3EElll, .Lfunc_end52-_ZL16dequantize_blockILi32ELi1EXadL_ZL15dequantize_q8_0PKvliR15HIP_vector_typeIfLj2EEEE14__hip_bfloat16EvS1_PT2_lllS2_IjLj3EElll
                                        ; -- End function
	.set _ZL16dequantize_blockILi32ELi1EXadL_ZL15dequantize_q8_0PKvliR15HIP_vector_typeIfLj2EEEE14__hip_bfloat16EvS1_PT2_lllS2_IjLj3EElll.num_vgpr, 13
	.set _ZL16dequantize_blockILi32ELi1EXadL_ZL15dequantize_q8_0PKvliR15HIP_vector_typeIfLj2EEEE14__hip_bfloat16EvS1_PT2_lllS2_IjLj3EElll.num_agpr, 0
	.set _ZL16dequantize_blockILi32ELi1EXadL_ZL15dequantize_q8_0PKvliR15HIP_vector_typeIfLj2EEEE14__hip_bfloat16EvS1_PT2_lllS2_IjLj3EElll.numbered_sgpr, 44
	.set _ZL16dequantize_blockILi32ELi1EXadL_ZL15dequantize_q8_0PKvliR15HIP_vector_typeIfLj2EEEE14__hip_bfloat16EvS1_PT2_lllS2_IjLj3EElll.num_named_barrier, 0
	.set _ZL16dequantize_blockILi32ELi1EXadL_ZL15dequantize_q8_0PKvliR15HIP_vector_typeIfLj2EEEE14__hip_bfloat16EvS1_PT2_lllS2_IjLj3EElll.private_seg_size, 0
	.set _ZL16dequantize_blockILi32ELi1EXadL_ZL15dequantize_q8_0PKvliR15HIP_vector_typeIfLj2EEEE14__hip_bfloat16EvS1_PT2_lllS2_IjLj3EElll.uses_vcc, 1
	.set _ZL16dequantize_blockILi32ELi1EXadL_ZL15dequantize_q8_0PKvliR15HIP_vector_typeIfLj2EEEE14__hip_bfloat16EvS1_PT2_lllS2_IjLj3EElll.uses_flat_scratch, 0
	.set _ZL16dequantize_blockILi32ELi1EXadL_ZL15dequantize_q8_0PKvliR15HIP_vector_typeIfLj2EEEE14__hip_bfloat16EvS1_PT2_lllS2_IjLj3EElll.has_dyn_sized_stack, 0
	.set _ZL16dequantize_blockILi32ELi1EXadL_ZL15dequantize_q8_0PKvliR15HIP_vector_typeIfLj2EEEE14__hip_bfloat16EvS1_PT2_lllS2_IjLj3EElll.has_recursion, 0
	.set _ZL16dequantize_blockILi32ELi1EXadL_ZL15dequantize_q8_0PKvliR15HIP_vector_typeIfLj2EEEE14__hip_bfloat16EvS1_PT2_lllS2_IjLj3EElll.has_indirect_call, 0
	.section	.AMDGPU.csdata,"",@progbits
; Kernel info:
; codeLenInByte = 916
; TotalNumSgprs: 46
; NumVgprs: 13
; ScratchSize: 0
; MemoryBound: 0
; FloatMode: 240
; IeeeMode: 1
; LDSByteSize: 0 bytes/workgroup (compile time only)
; SGPRBlocks: 0
; VGPRBlocks: 1
; NumSGPRsForWavesPerEU: 46
; NumVGPRsForWavesPerEU: 13
; Occupancy: 16
; WaveLimiterHint : 0
; COMPUTE_PGM_RSRC2:SCRATCH_EN: 0
; COMPUTE_PGM_RSRC2:USER_SGPR: 2
; COMPUTE_PGM_RSRC2:TRAP_HANDLER: 0
; COMPUTE_PGM_RSRC2:TGID_X_EN: 1
; COMPUTE_PGM_RSRC2:TGID_Y_EN: 1
; COMPUTE_PGM_RSRC2:TGID_Z_EN: 1
; COMPUTE_PGM_RSRC2:TIDIG_COMP_CNT: 0
	.section	.text._ZL13convert_unaryI6__half14__hip_bfloat16EvPKvPT0_lll15HIP_vector_typeIjLj3EElll,"axG",@progbits,_ZL13convert_unaryI6__half14__hip_bfloat16EvPKvPT0_lll15HIP_vector_typeIjLj3EElll,comdat
	.globl	_ZL13convert_unaryI6__half14__hip_bfloat16EvPKvPT0_lll15HIP_vector_typeIjLj3EElll ; -- Begin function _ZL13convert_unaryI6__half14__hip_bfloat16EvPKvPT0_lll15HIP_vector_typeIjLj3EElll
	.p2align	8
	.type	_ZL13convert_unaryI6__half14__hip_bfloat16EvPKvPT0_lll15HIP_vector_typeIjLj3EElll,@function
_ZL13convert_unaryI6__half14__hip_bfloat16EvPKvPT0_lll15HIP_vector_typeIjLj3EElll: ; @_ZL13convert_unaryI6__half14__hip_bfloat16EvPKvPT0_lll15HIP_vector_typeIjLj3EElll
; %bb.0:
	s_clause 0x1
	s_load_b32 s2, s[0:1], 0x5c
	s_load_b128 s[4:7], s[0:1], 0x10
	v_mov_b32_e32 v1, 0
	s_wait_kmcnt 0x0
	s_and_b32 s2, s2, 0xffff
	s_delay_alu instid0(VALU_DEP_1) | instid1(SALU_CYCLE_1)
	v_mad_co_u64_u32 v[0:1], null, s2, ttmp9, v[0:1]
	s_mov_b32 s2, exec_lo
	v_cmpx_gt_i64_e64 s[4:5], v[0:1]
	s_cbranch_execz .LBB53_16
; %bb.1:
	s_load_b64 s[2:3], s[0:1], 0x20
	s_mov_b32 s21, 0
	s_and_b32 s20, ttmp7, 0xffff
	s_delay_alu instid0(SALU_CYCLE_1)
	v_cmp_le_i64_e64 s8, s[6:7], s[20:21]
	s_and_b32 vcc_lo, exec_lo, s8
	s_cbranch_vccnz .LBB53_16
; %bb.2:
	s_clause 0x3
	s_load_b128 s[8:11], s[0:1], 0x0
	s_load_b96 s[16:18], s[0:1], 0x28
	s_load_b128 s[12:15], s[0:1], 0x38
	s_load_b64 s[22:23], s[0:1], 0x48
	s_add_nc_u64 s[24:25], s[0:1], 0x50
	v_lshlrev_b64_e32 v[0:1], 1, v[0:1]
	s_load_b32 s30, s[24:25], 0x4
	s_lshr_b32 s26, ttmp7, 16
	s_mov_b32 s27, s21
	s_mul_u64 s[0:1], s[6:7], s[4:5]
	s_wait_kmcnt 0x0
	v_cmp_gt_i64_e64 s77, s[2:3], s[26:27]
	s_mov_b32 s29, s21
	s_mov_b32 s31, s21
	;; [unrolled: 1-line block ×9, first 2 shown]
	v_add_co_u32 v2, vcc_lo, s10, v0
	s_delay_alu instid0(VALU_DEP_1)
	v_add_co_ci_u32_e64 v3, null, s11, v1, vcc_lo
	s_mov_b32 s28, s16
	s_mov_b32 s34, s16
	;; [unrolled: 1-line block ×19, first 2 shown]
	s_lshl_b64 s[4:5], s[4:5], 1
	s_wait_alu 0xfffe
	s_lshl_b64 s[52:53], s[0:1], 1
	s_sub_co_i32 s78, 0, s18
	s_mov_b32 s79, 0x4f800000
	s_mov_b64 s[18:19], s[20:21]
	s_branch .LBB53_4
.LBB53_3:                               ;   in Loop: Header=BB53_4 Depth=1
	s_add_nc_u64 s[18:19], s[18:19], s[30:31]
	s_wait_alu 0xfffe
	v_cmp_ge_i64_e64 s0, s[18:19], s[6:7]
	s_and_b32 vcc_lo, exec_lo, s0
	s_wait_alu 0xfffe
	s_cbranch_vccnz .LBB53_16
.LBB53_4:                               ; =>This Loop Header: Depth=1
                                        ;     Child Loop BB53_10 Depth 2
                                        ;     Child Loop BB53_14 Depth 2
	s_and_not1_b32 vcc_lo, exec_lo, s77
	s_wait_alu 0xfffe
	s_cbranch_vccnz .LBB53_3
; %bb.5:                                ;   in Loop: Header=BB53_4 Depth=1
	s_load_b32 s54, s[24:25], 0x8
	s_mov_b32 s55, s21
	s_wait_kmcnt 0x0
	s_wait_alu 0xfffe
	s_add_nc_u64 s[0:1], s[26:27], s[54:55]
	s_wait_alu 0xfffe
	v_cmp_gt_i64_e64 s58, s[2:3], s[0:1]
	s_wait_alu 0xf1ff
	s_delay_alu instid0(VALU_DEP_1) | instskip(SKIP_3) | instid1(VALU_DEP_1)
	v_cndmask_b32_e64 v4, 0, 1, s58
	s_and_b32 s56, s58, exec_lo
	s_cselect_b32 s57, s3, s1
	s_cselect_b32 s56, s2, s0
	v_readfirstlane_b32 s20, v4
	s_sub_nc_u64 s[56:57], s[56:57], s[20:21]
	s_delay_alu instid0(SALU_CYCLE_1) | instskip(SKIP_3) | instid1(SALU_CYCLE_1)
	s_sub_nc_u64 s[0:1], s[56:57], s[0:1]
	s_mov_b32 s56, s21
	s_wait_alu 0xfffe
	s_mov_b32 s57, s1
	s_cmp_lg_u64 s[56:57], 0
	s_cbranch_scc0 .LBB53_15
; %bb.6:                                ;   in Loop: Header=BB53_4 Depth=1
	s_cvt_f32_u32 s20, s54
	s_sub_nc_u64 s[60:61], 0, s[54:55]
	s_wait_alu 0xfffe
	s_delay_alu instid0(SALU_CYCLE_1) | instskip(SKIP_1) | instid1(SALU_CYCLE_2)
	s_fmamk_f32 s20, s79, 0x0, s20
	s_wait_alu 0xfffe
	v_s_rcp_f32 s20, s20
	s_delay_alu instid0(TRANS32_DEP_1) | instskip(SKIP_1) | instid1(SALU_CYCLE_2)
	s_mul_f32 s20, s20, 0x5f7ffffc
	s_wait_alu 0xfffe
	s_mul_f32 s56, s20, 0x2f800000
	s_delay_alu instid0(SALU_CYCLE_3) | instskip(NEXT) | instid1(SALU_CYCLE_3)
	s_trunc_f32 s56, s56
	s_fmamk_f32 s20, s56, 0xcf800000, s20
	s_cvt_u32_f32 s57, s56
	s_wait_alu 0xfffe
	s_delay_alu instid0(SALU_CYCLE_1) | instskip(NEXT) | instid1(SALU_CYCLE_3)
	s_cvt_u32_f32 s56, s20
	s_mul_u64 s[62:63], s[60:61], s[56:57]
	s_delay_alu instid0(SALU_CYCLE_1)
	s_mul_hi_u32 s65, s56, s63
	s_mul_i32 s64, s56, s63
	s_mul_hi_u32 s20, s56, s62
	s_mul_i32 s66, s57, s62
	s_wait_alu 0xfffe
	s_add_nc_u64 s[64:65], s[20:21], s[64:65]
	s_mul_hi_u32 s59, s57, s62
	s_mul_hi_u32 s67, s57, s63
	s_add_co_u32 s20, s64, s66
	s_wait_alu 0xfffe
	s_add_co_ci_u32 s20, s65, s59
	s_mul_i32 s62, s57, s63
	s_add_co_ci_u32 s63, s67, 0
	s_wait_alu 0xfffe
	s_add_nc_u64 s[62:63], s[20:21], s[62:63]
	s_delay_alu instid0(SALU_CYCLE_1) | instskip(SKIP_4) | instid1(SALU_CYCLE_1)
	s_add_co_u32 s56, s56, s62
	s_cselect_b32 s20, -1, 0
	s_wait_alu 0xfffe
	s_cmp_lg_u32 s20, 0
	s_add_co_ci_u32 s57, s57, s63
	s_mul_u64 s[60:61], s[60:61], s[56:57]
	s_wait_alu 0xfffe
	s_mul_hi_u32 s63, s56, s61
	s_mul_i32 s62, s56, s61
	s_mul_hi_u32 s20, s56, s60
	s_mul_i32 s64, s57, s60
	s_wait_alu 0xfffe
	s_add_nc_u64 s[62:63], s[20:21], s[62:63]
	s_mul_hi_u32 s59, s57, s60
	s_mul_hi_u32 s65, s57, s61
	s_add_co_u32 s20, s62, s64
	s_wait_alu 0xfffe
	s_add_co_ci_u32 s20, s63, s59
	s_mul_i32 s60, s57, s61
	s_add_co_ci_u32 s61, s65, 0
	s_wait_alu 0xfffe
	s_add_nc_u64 s[60:61], s[20:21], s[60:61]
	s_wait_alu 0xfffe
	s_add_co_u32 s56, s56, s60
	s_cselect_b32 s59, -1, 0
	s_mul_hi_u32 s20, s0, s56
	s_wait_alu 0xfffe
	s_cmp_lg_u32 s59, 0
	s_mul_hi_u32 s59, s1, s56
	s_add_co_ci_u32 s60, s57, s61
	s_mul_i32 s61, s1, s56
	s_wait_alu 0xfffe
	s_mul_hi_u32 s57, s0, s60
	s_mul_i32 s56, s0, s60
	s_mul_hi_u32 s62, s1, s60
	s_add_nc_u64 s[56:57], s[20:21], s[56:57]
	s_mul_i32 s60, s1, s60
	s_add_co_u32 s20, s56, s61
	s_add_co_ci_u32 s20, s57, s59
	s_add_co_ci_u32 s61, s62, 0
	s_wait_alu 0xfffe
	s_add_nc_u64 s[56:57], s[20:21], s[60:61]
	s_delay_alu instid0(SALU_CYCLE_1)
	s_mul_u64 s[60:61], s[54:55], s[56:57]
	s_add_nc_u64 s[62:63], s[56:57], 2
	s_wait_alu 0xfffe
	s_sub_co_u32 s20, s0, s60
	s_cselect_b32 s59, -1, 0
	s_wait_alu 0xfffe
	s_cmp_lg_u32 s59, 0
	s_sub_co_ci_u32 s1, s1, s61
	s_sub_co_u32 s59, s20, s54
	s_cselect_b32 s60, -1, 0
	s_wait_alu 0xfffe
	s_cmp_lg_u32 s60, 0
	s_sub_co_ci_u32 s60, s1, 0
	s_cmp_ge_u32 s59, s54
	s_cselect_b32 s59, -1, 0
	s_wait_alu 0xfffe
	s_cmp_eq_u32 s60, 0
	s_add_nc_u64 s[60:61], s[56:57], 1
	s_cselect_b32 s59, s59, -1
	s_wait_alu 0xfffe
	s_cmp_lg_u32 s59, 0
	s_cselect_b32 s59, s62, s60
	s_cselect_b32 s60, s63, s61
	s_cmp_ge_u32 s20, s54
	s_cselect_b32 s20, -1, 0
	s_cmp_eq_u32 s1, 0
	s_wait_alu 0xfffe
	s_cselect_b32 s1, s20, -1
	s_wait_alu 0xfffe
	s_cmp_lg_u32 s1, 0
	s_cselect_b32 s57, s60, s57
	s_cselect_b32 s56, s59, s56
	s_cbranch_execnz .LBB53_8
.LBB53_7:                               ;   in Loop: Header=BB53_4 Depth=1
	v_cvt_f32_u32_e32 v4, s54
	s_sub_co_i32 s20, 0, s54
	s_delay_alu instid0(VALU_DEP_1) | instskip(NEXT) | instid1(TRANS32_DEP_1)
	v_rcp_iflag_f32_e32 v4, v4
	v_mul_f32_e32 v4, 0x4f7ffffe, v4
	s_delay_alu instid0(VALU_DEP_1) | instskip(NEXT) | instid1(VALU_DEP_1)
	v_cvt_u32_f32_e32 v4, v4
	v_readfirstlane_b32 s1, v4
	s_wait_alu 0xfffe
	s_mul_i32 s20, s20, s1
	s_wait_alu 0xfffe
	s_mul_hi_u32 s20, s1, s20
	s_wait_alu 0xfffe
	s_add_co_i32 s1, s1, s20
	s_wait_alu 0xfffe
	s_mul_hi_u32 s1, s0, s1
	s_wait_alu 0xfffe
	s_mul_i32 s20, s1, s54
	s_wait_alu 0xfffe
	s_sub_co_i32 s0, s0, s20
	s_add_co_i32 s20, s1, 1
	s_wait_alu 0xfffe
	s_sub_co_i32 s56, s0, s54
	s_cmp_ge_u32 s0, s54
	s_cselect_b32 s1, s20, s1
	s_cselect_b32 s0, s56, s0
	s_wait_alu 0xfffe
	s_add_co_i32 s20, s1, 1
	s_cmp_ge_u32 s0, s54
	s_wait_alu 0xfffe
	s_cselect_b32 s20, s20, s1
	s_wait_alu 0xfffe
	s_mov_b64 s[56:57], s[20:21]
.LBB53_8:                               ;   in Loop: Header=BB53_4 Depth=1
	s_and_b32 s0, s58, exec_lo
	s_cselect_b32 s20, 2, 1
	s_mov_b32 s0, -1
	s_wait_alu 0xfffe
	s_add_nc_u64 s[58:59], s[20:21], s[56:57]
	s_mul_u64 s[56:57], s[18:19], s[12:13]
	s_wait_alu 0xfffe
	v_cmp_lt_u64_e64 s1, s[58:59], 2
	s_mov_b64 s[60:61], s[26:27]
	s_and_b32 vcc_lo, exec_lo, s1
	s_wait_alu 0xfffe
	s_cbranch_vccnz .LBB53_12
; %bb.9:                                ;   in Loop: Header=BB53_4 Depth=1
	s_and_b32 s60, s58, -2
	s_mov_b32 s61, s59
	s_lshl_b64 s[68:69], s[54:55], 1
	s_mov_b32 s62, s18
	s_mov_b32 s63, s19
	s_add_nc_u64 s[64:65], s[50:51], s[54:55]
	s_mov_b32 s66, s75
	s_mov_b32 s67, s76
	s_mov_b32 s70, s68
	s_mov_b32 s71, s69
	s_wait_alu 0xfffe
	s_mov_b64 s[72:73], s[60:61]
.LBB53_10:                              ;   Parent Loop BB53_4 Depth=1
                                        ; =>  This Inner Loop Header: Depth=2
	s_mov_b32 s0, s64
	s_mov_b32 s1, s21
	s_mov_b32 s20, s66
	s_wait_alu 0xfffe
	s_mul_u64 s[0:1], s[0:1], s[36:37]
	s_mul_u64 s[88:89], s[20:21], s[34:35]
	s_wait_alu 0xfffe
	s_add_co_i32 s1, s1, s64
	s_add_co_i32 s0, s89, s66
	s_wait_alu 0xfffe
	s_lshr_b32 s84, s1, s17
	s_mov_b32 s85, s21
	s_lshr_b32 s82, s0, s16
	s_mul_i32 s80, s84, s74
	s_mov_b32 s81, s21
	s_mov_b32 s83, s21
	s_mul_i32 s20, s82, s33
	s_mul_u64 s[0:1], s[10:11], s[84:85]
	s_wait_alu 0xfffe
	s_sub_co_i32 s80, s64, s80
	s_mul_u64 s[82:83], s[22:23], s[82:83]
	s_sub_co_i32 s20, s66, s20
	s_lshl_b64 s[0:1], s[0:1], 1
	s_wait_alu 0xfffe
	s_mul_u64 s[80:81], s[40:41], s[80:81]
	s_lshl_b64 s[82:83], s[82:83], 1
	s_mul_u64 s[84:85], s[38:39], s[20:21]
	s_add_nc_u64 s[0:1], s[8:9], s[0:1]
	s_wait_alu 0xfffe
	s_lshl_b64 s[80:81], s[80:81], 1
	s_lshl_b64 s[86:87], s[56:57], 1
	s_add_nc_u64 s[82:83], s[8:9], s[82:83]
	s_lshl_b64 s[84:85], s[84:85], 1
	s_wait_alu 0xfffe
	s_add_nc_u64 s[0:1], s[0:1], s[80:81]
	s_add_nc_u64 s[82:83], s[82:83], s[84:85]
	s_wait_alu 0xfffe
	s_add_nc_u64 s[0:1], s[0:1], s[86:87]
	s_add_nc_u64 s[80:81], s[82:83], s[86:87]
	s_wait_alu 0xfffe
	v_add_co_u32 v4, vcc_lo, s0, v0
	s_wait_alu 0xfffd
	v_add_co_ci_u32_e64 v5, null, s1, v1, vcc_lo
	v_add_co_u32 v6, vcc_lo, s80, v0
	s_wait_alu 0xfffd
	v_add_co_ci_u32_e64 v7, null, s81, v1, vcc_lo
	s_clause 0x1
	global_load_u16 v8, v[4:5], off
	global_load_u16 v6, v[6:7], off
	s_mul_u64 s[80:81], s[66:67], s[42:43]
	s_mul_u64 s[0:1], s[64:65], s[44:45]
	s_wait_alu 0xfffe
	s_add_nc_u64 s[80:81], s[80:81], s[18:19]
	s_add_nc_u64 s[0:1], s[0:1], s[62:63]
	s_wait_alu 0xfffe
	s_mul_u64 s[80:81], s[80:81], s[46:47]
	s_mul_u64 s[0:1], s[0:1], s[48:49]
	s_wait_alu 0xfffe
	s_lshl_b64 s[80:81], s[80:81], 1
	s_lshl_b64 s[0:1], s[0:1], 1
	s_wait_alu 0xfffe
	v_add_co_u32 v4, vcc_lo, v2, s80
	s_wait_alu 0xfffd
	v_add_co_ci_u32_e64 v5, null, s81, v3, vcc_lo
	s_add_nc_u64 s[72:73], s[72:73], -2
	s_add_nc_u64 s[64:65], s[64:65], s[70:71]
	s_add_nc_u64 s[66:67], s[66:67], s[68:69]
	s_cmp_lg_u64 s[72:73], 0
	s_wait_loadcnt 0x1
	v_cvt_f32_f16_e32 v8, v8
	s_wait_loadcnt 0x0
	v_cvt_f32_f16_e32 v9, v6
	v_add_co_u32 v6, vcc_lo, v2, s0
	s_delay_alu instid0(VALU_DEP_3) | instskip(NEXT) | instid1(VALU_DEP_3)
	v_bfe_u32 v7, v8, 16, 1
	v_bfe_u32 v10, v9, 16, 1
	v_or_b32_e32 v12, 0x400000, v9
	v_cmp_u_f32_e64 s0, v9, v9
	v_or_b32_e32 v11, 0x400000, v8
	v_add3_u32 v13, v7, v8, 0x7fff
	v_add3_u32 v10, v10, v9, 0x7fff
	s_wait_alu 0xfffd
	v_add_co_ci_u32_e64 v7, null, s1, v3, vcc_lo
	v_cmp_u_f32_e32 vcc_lo, v8, v8
	s_wait_alu 0xf1ff
	v_cndmask_b32_e64 v8, v10, v12, s0
	s_wait_alu 0xfffd
	v_cndmask_b32_e32 v9, v13, v11, vcc_lo
	s_clause 0x1
	global_store_d16_hi_b16 v[4:5], v8, off
	global_store_d16_hi_b16 v[6:7], v9, off
	s_cbranch_scc1 .LBB53_10
; %bb.11:                               ;   in Loop: Header=BB53_4 Depth=1
	s_mul_u64 s[0:1], s[60:61], s[54:55]
	s_cmp_lg_u64 s[58:59], s[60:61]
	s_wait_alu 0xfffe
	s_add_nc_u64 s[60:61], s[0:1], s[26:27]
	s_cselect_b32 s0, -1, 0
.LBB53_12:                              ;   in Loop: Header=BB53_4 Depth=1
	s_wait_alu 0xfffe
	s_and_b32 vcc_lo, exec_lo, s0
	s_wait_alu 0xfffe
	s_cbranch_vccz .LBB53_3
; %bb.13:                               ;   in Loop: Header=BB53_4 Depth=1
	s_mul_u64 s[0:1], s[6:7], s[60:61]
	s_mul_u64 s[58:59], s[52:53], s[54:55]
	s_wait_alu 0xfffe
	s_add_nc_u64 s[0:1], s[18:19], s[0:1]
	s_wait_alu 0xfffe
	v_mad_co_u64_u32 v[4:5], null, s4, s0, v[2:3]
	s_mul_i32 s0, s5, s0
	s_mul_i32 s1, s4, s1
	s_wait_alu 0xfffe
	v_add3_u32 v5, s1, s0, v5
.LBB53_14:                              ;   Parent Loop BB53_4 Depth=1
                                        ; =>  This Inner Loop Header: Depth=2
	s_mov_b32 s20, s60
	s_mov_b32 s1, s21
	s_wait_alu 0xfffe
	s_mul_u64 s[64:65], s[28:29], s[20:21]
	s_lshl_b64 s[62:63], s[56:57], 1
	s_add_co_i32 s0, s60, s65
	s_wait_alu 0xfffe
	s_lshr_b32 s0, s0, s17
	s_wait_alu 0xfffe
	s_mul_i32 s20, s78, s0
	s_mul_u64 s[0:1], s[22:23], s[0:1]
	s_wait_alu 0xfffe
	s_add_co_i32 s20, s60, s20
	s_lshl_b64 s[0:1], s[0:1], 1
	s_wait_alu 0xfffe
	s_mul_u64 s[64:65], s[14:15], s[20:21]
	s_add_nc_u64 s[0:1], s[8:9], s[0:1]
	s_lshl_b64 s[64:65], s[64:65], 1
	s_add_nc_u64 s[60:61], s[60:61], s[54:55]
	s_wait_alu 0xfffe
	s_add_nc_u64 s[0:1], s[0:1], s[64:65]
	s_wait_alu 0xfffe
	;; [unrolled: 2-line block ×3, first 2 shown]
	v_add_co_u32 v6, vcc_lo, s0, v0
	s_wait_alu 0xfffd
	v_add_co_ci_u32_e64 v7, null, s1, v1, vcc_lo
	v_cmp_ge_i64_e64 s0, s[60:61], s[2:3]
	global_load_u16 v6, v[6:7], off
	s_and_b32 vcc_lo, exec_lo, s0
	s_wait_loadcnt 0x0
	v_cvt_f32_f16_e32 v6, v6
	s_delay_alu instid0(VALU_DEP_1) | instskip(SKIP_2) | instid1(VALU_DEP_3)
	v_bfe_u32 v7, v6, 16, 1
	v_or_b32_e32 v8, 0x400000, v6
	v_cmp_u_f32_e64 s0, v6, v6
	v_add3_u32 v7, v7, v6, 0x7fff
	s_wait_alu 0xf1ff
	s_delay_alu instid0(VALU_DEP_1)
	v_cndmask_b32_e64 v6, v7, v8, s0
	global_store_d16_hi_b16 v[4:5], v6, off
	v_add_co_u32 v4, s0, v4, s58
	s_wait_alu 0xf1ff
	v_add_co_ci_u32_e64 v5, null, s59, v5, s0
	s_wait_alu 0xfffe
	s_cbranch_vccz .LBB53_14
	s_branch .LBB53_3
.LBB53_15:                              ;   in Loop: Header=BB53_4 Depth=1
                                        ; implicit-def: $sgpr56_sgpr57
	s_branch .LBB53_7
.LBB53_16:
	s_endpgm
	.section	.rodata,"a",@progbits
	.p2align	6, 0x0
	.amdhsa_kernel _ZL13convert_unaryI6__half14__hip_bfloat16EvPKvPT0_lll15HIP_vector_typeIjLj3EElll
		.amdhsa_group_segment_fixed_size 0
		.amdhsa_private_segment_fixed_size 0
		.amdhsa_kernarg_size 336
		.amdhsa_user_sgpr_count 2
		.amdhsa_user_sgpr_dispatch_ptr 0
		.amdhsa_user_sgpr_queue_ptr 0
		.amdhsa_user_sgpr_kernarg_segment_ptr 1
		.amdhsa_user_sgpr_dispatch_id 0
		.amdhsa_user_sgpr_private_segment_size 0
		.amdhsa_wavefront_size32 1
		.amdhsa_uses_dynamic_stack 0
		.amdhsa_enable_private_segment 0
		.amdhsa_system_sgpr_workgroup_id_x 1
		.amdhsa_system_sgpr_workgroup_id_y 1
		.amdhsa_system_sgpr_workgroup_id_z 1
		.amdhsa_system_sgpr_workgroup_info 0
		.amdhsa_system_vgpr_workitem_id 0
		.amdhsa_next_free_vgpr 14
		.amdhsa_next_free_sgpr 90
		.amdhsa_reserve_vcc 1
		.amdhsa_float_round_mode_32 0
		.amdhsa_float_round_mode_16_64 0
		.amdhsa_float_denorm_mode_32 3
		.amdhsa_float_denorm_mode_16_64 3
		.amdhsa_fp16_overflow 0
		.amdhsa_workgroup_processor_mode 1
		.amdhsa_memory_ordered 1
		.amdhsa_forward_progress 1
		.amdhsa_inst_pref_size 16
		.amdhsa_round_robin_scheduling 0
		.amdhsa_exception_fp_ieee_invalid_op 0
		.amdhsa_exception_fp_denorm_src 0
		.amdhsa_exception_fp_ieee_div_zero 0
		.amdhsa_exception_fp_ieee_overflow 0
		.amdhsa_exception_fp_ieee_underflow 0
		.amdhsa_exception_fp_ieee_inexact 0
		.amdhsa_exception_int_div_zero 0
	.end_amdhsa_kernel
	.section	.text._ZL13convert_unaryI6__half14__hip_bfloat16EvPKvPT0_lll15HIP_vector_typeIjLj3EElll,"axG",@progbits,_ZL13convert_unaryI6__half14__hip_bfloat16EvPKvPT0_lll15HIP_vector_typeIjLj3EElll,comdat
.Lfunc_end53:
	.size	_ZL13convert_unaryI6__half14__hip_bfloat16EvPKvPT0_lll15HIP_vector_typeIjLj3EElll, .Lfunc_end53-_ZL13convert_unaryI6__half14__hip_bfloat16EvPKvPT0_lll15HIP_vector_typeIjLj3EElll
                                        ; -- End function
	.set _ZL13convert_unaryI6__half14__hip_bfloat16EvPKvPT0_lll15HIP_vector_typeIjLj3EElll.num_vgpr, 14
	.set _ZL13convert_unaryI6__half14__hip_bfloat16EvPKvPT0_lll15HIP_vector_typeIjLj3EElll.num_agpr, 0
	.set _ZL13convert_unaryI6__half14__hip_bfloat16EvPKvPT0_lll15HIP_vector_typeIjLj3EElll.numbered_sgpr, 90
	.set _ZL13convert_unaryI6__half14__hip_bfloat16EvPKvPT0_lll15HIP_vector_typeIjLj3EElll.num_named_barrier, 0
	.set _ZL13convert_unaryI6__half14__hip_bfloat16EvPKvPT0_lll15HIP_vector_typeIjLj3EElll.private_seg_size, 0
	.set _ZL13convert_unaryI6__half14__hip_bfloat16EvPKvPT0_lll15HIP_vector_typeIjLj3EElll.uses_vcc, 1
	.set _ZL13convert_unaryI6__half14__hip_bfloat16EvPKvPT0_lll15HIP_vector_typeIjLj3EElll.uses_flat_scratch, 0
	.set _ZL13convert_unaryI6__half14__hip_bfloat16EvPKvPT0_lll15HIP_vector_typeIjLj3EElll.has_dyn_sized_stack, 0
	.set _ZL13convert_unaryI6__half14__hip_bfloat16EvPKvPT0_lll15HIP_vector_typeIjLj3EElll.has_recursion, 0
	.set _ZL13convert_unaryI6__half14__hip_bfloat16EvPKvPT0_lll15HIP_vector_typeIjLj3EElll.has_indirect_call, 0
	.section	.AMDGPU.csdata,"",@progbits
; Kernel info:
; codeLenInByte = 2004
; TotalNumSgprs: 92
; NumVgprs: 14
; ScratchSize: 0
; MemoryBound: 0
; FloatMode: 240
; IeeeMode: 1
; LDSByteSize: 0 bytes/workgroup (compile time only)
; SGPRBlocks: 0
; VGPRBlocks: 1
; NumSGPRsForWavesPerEU: 92
; NumVGPRsForWavesPerEU: 14
; Occupancy: 16
; WaveLimiterHint : 0
; COMPUTE_PGM_RSRC2:SCRATCH_EN: 0
; COMPUTE_PGM_RSRC2:USER_SGPR: 2
; COMPUTE_PGM_RSRC2:TRAP_HANDLER: 0
; COMPUTE_PGM_RSRC2:TGID_X_EN: 1
; COMPUTE_PGM_RSRC2:TGID_Y_EN: 1
; COMPUTE_PGM_RSRC2:TGID_Z_EN: 1
; COMPUTE_PGM_RSRC2:TIDIG_COMP_CNT: 0
	.section	.text._ZL13convert_unaryI6__halffEvPKvPT0_lll15HIP_vector_typeIjLj3EElll,"axG",@progbits,_ZL13convert_unaryI6__halffEvPKvPT0_lll15HIP_vector_typeIjLj3EElll,comdat
	.globl	_ZL13convert_unaryI6__halffEvPKvPT0_lll15HIP_vector_typeIjLj3EElll ; -- Begin function _ZL13convert_unaryI6__halffEvPKvPT0_lll15HIP_vector_typeIjLj3EElll
	.p2align	8
	.type	_ZL13convert_unaryI6__halffEvPKvPT0_lll15HIP_vector_typeIjLj3EElll,@function
_ZL13convert_unaryI6__halffEvPKvPT0_lll15HIP_vector_typeIjLj3EElll: ; @_ZL13convert_unaryI6__halffEvPKvPT0_lll15HIP_vector_typeIjLj3EElll
; %bb.0:
	s_clause 0x1
	s_load_b32 s2, s[0:1], 0x5c
	s_load_b128 s[4:7], s[0:1], 0x10
	v_mov_b32_e32 v1, 0
	s_wait_kmcnt 0x0
	s_and_b32 s2, s2, 0xffff
	s_delay_alu instid0(VALU_DEP_1) | instid1(SALU_CYCLE_1)
	v_mad_co_u64_u32 v[0:1], null, s2, ttmp9, v[0:1]
	s_mov_b32 s2, exec_lo
	v_cmpx_gt_i64_e64 s[4:5], v[0:1]
	s_cbranch_execz .LBB54_7
; %bb.1:
	s_load_b64 s[2:3], s[0:1], 0x20
	s_mov_b32 s21, 0
	s_and_b32 s20, ttmp7, 0xffff
	s_delay_alu instid0(SALU_CYCLE_1)
	v_cmp_le_i64_e64 s8, s[6:7], s[20:21]
	s_and_b32 vcc_lo, exec_lo, s8
	s_cbranch_vccnz .LBB54_7
; %bb.2:
	s_add_nc_u64 s[22:23], s[0:1], 0x50
	s_clause 0x1
	s_load_b96 s[16:18], s[0:1], 0x28
	s_load_b128 s[8:11], s[0:1], 0x0
	s_load_b32 s24, s[22:23], 0x4
	s_clause 0x1
	s_load_b128 s[12:15], s[0:1], 0x38
	s_load_b64 s[26:27], s[0:1], 0x48
	s_lshr_b32 s28, ttmp7, 16
	s_mov_b32 s29, s21
	v_lshlrev_b64_e32 v[2:3], 2, v[0:1]
	s_mul_u64 s[0:1], s[6:7], s[28:29]
	s_mov_b32 s25, s21
	s_wait_alu 0xfffe
	s_add_nc_u64 s[0:1], s[0:1], s[20:21]
	v_lshlrev_b64_e32 v[0:1], 1, v[0:1]
	s_wait_alu 0xfffe
	s_mul_u64 s[0:1], s[4:5], s[0:1]
	s_mul_u64 s[34:35], s[6:7], s[4:5]
	s_wait_alu 0xfffe
	s_lshl_b64 s[0:1], s[0:1], 2
	s_mov_b32 s31, s21
	s_wait_kmcnt 0x0
	s_mov_b32 s30, s16
	s_wait_alu 0xfffe
	s_add_nc_u64 s[0:1], s[10:11], s[0:1]
	s_mul_u64 s[4:5], s[4:5], s[24:25]
	s_wait_alu 0xfffe
	v_add_co_u32 v2, vcc_lo, s0, v2
	s_delay_alu instid0(VALU_DEP_1)
	v_add_co_ci_u32_e64 v3, null, s1, v3, vcc_lo
	v_cmp_gt_i64_e64 s1, s[2:3], s[28:29]
	s_lshl_b64 s[4:5], s[4:5], 2
	s_lshl_b64 s[10:11], s[34:35], 2
	s_sub_co_i32 s16, 0, s18
	s_mov_b64 s[18:19], s[20:21]
	s_branch .LBB54_4
.LBB54_3:                               ;   in Loop: Header=BB54_4 Depth=1
	s_add_nc_u64 s[18:19], s[18:19], s[24:25]
	v_add_co_u32 v2, vcc_lo, v2, s4
	s_wait_alu 0xfffe
	v_cmp_ge_i64_e64 s0, s[18:19], s[6:7]
	s_wait_alu 0xfffd
	v_add_co_ci_u32_e64 v3, null, s5, v3, vcc_lo
	s_and_b32 vcc_lo, exec_lo, s0
	s_wait_alu 0xfffe
	s_cbranch_vccnz .LBB54_7
.LBB54_4:                               ; =>This Loop Header: Depth=1
                                        ;     Child Loop BB54_6 Depth 2
	s_and_not1_b32 vcc_lo, exec_lo, s1
	s_wait_alu 0xfffe
	s_cbranch_vccnz .LBB54_3
; %bb.5:                                ;   in Loop: Header=BB54_4 Depth=1
	s_load_b32 s34, s[22:23], 0x8
	v_dual_mov_b32 v5, v3 :: v_dual_mov_b32 v4, v2
	s_mul_u64 s[36:37], s[18:19], s[12:13]
	s_mov_b32 s35, s21
	s_lshl_b64 s[36:37], s[36:37], 1
	s_mov_b64 s[40:41], s[28:29]
	s_wait_kmcnt 0x0
	s_mul_u64 s[38:39], s[10:11], s[34:35]
.LBB54_6:                               ;   Parent Loop BB54_4 Depth=1
                                        ; =>  This Inner Loop Header: Depth=2
	s_wait_alu 0xfffe
	s_mov_b32 s20, s40
	s_mov_b32 s43, s21
	s_wait_alu 0xfffe
	s_mul_u64 s[44:45], s[30:31], s[20:21]
	s_delay_alu instid0(SALU_CYCLE_1)
	s_add_co_i32 s0, s40, s45
	s_wait_alu 0xfffe
	s_lshr_b32 s42, s0, s17
	s_wait_alu 0xfffe
	s_mul_i32 s0, s16, s42
	s_mul_u64 s[42:43], s[26:27], s[42:43]
	s_wait_alu 0xfffe
	s_add_co_i32 s20, s40, s0
	s_lshl_b64 s[42:43], s[42:43], 1
	s_wait_alu 0xfffe
	s_mul_u64 s[44:45], s[14:15], s[20:21]
	s_add_nc_u64 s[42:43], s[8:9], s[42:43]
	s_lshl_b64 s[44:45], s[44:45], 1
	s_add_nc_u64 s[40:41], s[40:41], s[34:35]
	s_wait_alu 0xfffe
	s_add_nc_u64 s[42:43], s[42:43], s[44:45]
	v_cmp_ge_i64_e64 s0, s[40:41], s[2:3]
	s_wait_alu 0xfffe
	s_add_nc_u64 s[42:43], s[42:43], s[36:37]
	s_wait_alu 0xfffe
	v_add_co_u32 v6, vcc_lo, s42, v0
	s_wait_alu 0xfffd
	v_add_co_ci_u32_e64 v7, null, s43, v1, vcc_lo
	s_and_b32 vcc_lo, exec_lo, s0
	global_load_u16 v6, v[6:7], off
	s_wait_loadcnt 0x0
	v_cvt_f32_f16_e32 v6, v6
	global_store_b32 v[4:5], v6, off
	v_add_co_u32 v4, s0, v4, s38
	s_wait_alu 0xf1ff
	v_add_co_ci_u32_e64 v5, null, s39, v5, s0
	s_wait_alu 0xfffe
	s_cbranch_vccz .LBB54_6
	s_branch .LBB54_3
.LBB54_7:
	s_endpgm
	.section	.rodata,"a",@progbits
	.p2align	6, 0x0
	.amdhsa_kernel _ZL13convert_unaryI6__halffEvPKvPT0_lll15HIP_vector_typeIjLj3EElll
		.amdhsa_group_segment_fixed_size 0
		.amdhsa_private_segment_fixed_size 0
		.amdhsa_kernarg_size 336
		.amdhsa_user_sgpr_count 2
		.amdhsa_user_sgpr_dispatch_ptr 0
		.amdhsa_user_sgpr_queue_ptr 0
		.amdhsa_user_sgpr_kernarg_segment_ptr 1
		.amdhsa_user_sgpr_dispatch_id 0
		.amdhsa_user_sgpr_private_segment_size 0
		.amdhsa_wavefront_size32 1
		.amdhsa_uses_dynamic_stack 0
		.amdhsa_enable_private_segment 0
		.amdhsa_system_sgpr_workgroup_id_x 1
		.amdhsa_system_sgpr_workgroup_id_y 1
		.amdhsa_system_sgpr_workgroup_id_z 1
		.amdhsa_system_sgpr_workgroup_info 0
		.amdhsa_system_vgpr_workitem_id 0
		.amdhsa_next_free_vgpr 8
		.amdhsa_next_free_sgpr 46
		.amdhsa_reserve_vcc 1
		.amdhsa_float_round_mode_32 0
		.amdhsa_float_round_mode_16_64 0
		.amdhsa_float_denorm_mode_32 3
		.amdhsa_float_denorm_mode_16_64 3
		.amdhsa_fp16_overflow 0
		.amdhsa_workgroup_processor_mode 1
		.amdhsa_memory_ordered 1
		.amdhsa_forward_progress 1
		.amdhsa_inst_pref_size 5
		.amdhsa_round_robin_scheduling 0
		.amdhsa_exception_fp_ieee_invalid_op 0
		.amdhsa_exception_fp_denorm_src 0
		.amdhsa_exception_fp_ieee_div_zero 0
		.amdhsa_exception_fp_ieee_overflow 0
		.amdhsa_exception_fp_ieee_underflow 0
		.amdhsa_exception_fp_ieee_inexact 0
		.amdhsa_exception_int_div_zero 0
	.end_amdhsa_kernel
	.section	.text._ZL13convert_unaryI6__halffEvPKvPT0_lll15HIP_vector_typeIjLj3EElll,"axG",@progbits,_ZL13convert_unaryI6__halffEvPKvPT0_lll15HIP_vector_typeIjLj3EElll,comdat
.Lfunc_end54:
	.size	_ZL13convert_unaryI6__halffEvPKvPT0_lll15HIP_vector_typeIjLj3EElll, .Lfunc_end54-_ZL13convert_unaryI6__halffEvPKvPT0_lll15HIP_vector_typeIjLj3EElll
                                        ; -- End function
	.set _ZL13convert_unaryI6__halffEvPKvPT0_lll15HIP_vector_typeIjLj3EElll.num_vgpr, 8
	.set _ZL13convert_unaryI6__halffEvPKvPT0_lll15HIP_vector_typeIjLj3EElll.num_agpr, 0
	.set _ZL13convert_unaryI6__halffEvPKvPT0_lll15HIP_vector_typeIjLj3EElll.numbered_sgpr, 46
	.set _ZL13convert_unaryI6__halffEvPKvPT0_lll15HIP_vector_typeIjLj3EElll.num_named_barrier, 0
	.set _ZL13convert_unaryI6__halffEvPKvPT0_lll15HIP_vector_typeIjLj3EElll.private_seg_size, 0
	.set _ZL13convert_unaryI6__halffEvPKvPT0_lll15HIP_vector_typeIjLj3EElll.uses_vcc, 1
	.set _ZL13convert_unaryI6__halffEvPKvPT0_lll15HIP_vector_typeIjLj3EElll.uses_flat_scratch, 0
	.set _ZL13convert_unaryI6__halffEvPKvPT0_lll15HIP_vector_typeIjLj3EElll.has_dyn_sized_stack, 0
	.set _ZL13convert_unaryI6__halffEvPKvPT0_lll15HIP_vector_typeIjLj3EElll.has_recursion, 0
	.set _ZL13convert_unaryI6__halffEvPKvPT0_lll15HIP_vector_typeIjLj3EElll.has_indirect_call, 0
	.section	.AMDGPU.csdata,"",@progbits
; Kernel info:
; codeLenInByte = 588
; TotalNumSgprs: 48
; NumVgprs: 8
; ScratchSize: 0
; MemoryBound: 0
; FloatMode: 240
; IeeeMode: 1
; LDSByteSize: 0 bytes/workgroup (compile time only)
; SGPRBlocks: 0
; VGPRBlocks: 0
; NumSGPRsForWavesPerEU: 48
; NumVGPRsForWavesPerEU: 8
; Occupancy: 16
; WaveLimiterHint : 0
; COMPUTE_PGM_RSRC2:SCRATCH_EN: 0
; COMPUTE_PGM_RSRC2:USER_SGPR: 2
; COMPUTE_PGM_RSRC2:TRAP_HANDLER: 0
; COMPUTE_PGM_RSRC2:TGID_X_EN: 1
; COMPUTE_PGM_RSRC2:TGID_Y_EN: 1
; COMPUTE_PGM_RSRC2:TGID_Z_EN: 1
; COMPUTE_PGM_RSRC2:TIDIG_COMP_CNT: 0
	.section	.text._ZL16dequantize_blockILi128ELi1EXadL_ZL15dequantize_q1_0PKvliR15HIP_vector_typeIfLj2EEEEfEvS1_PT2_lllS2_IjLj3EElll,"axG",@progbits,_ZL16dequantize_blockILi128ELi1EXadL_ZL15dequantize_q1_0PKvliR15HIP_vector_typeIfLj2EEEEfEvS1_PT2_lllS2_IjLj3EElll,comdat
	.globl	_ZL16dequantize_blockILi128ELi1EXadL_ZL15dequantize_q1_0PKvliR15HIP_vector_typeIfLj2EEEEfEvS1_PT2_lllS2_IjLj3EElll ; -- Begin function _ZL16dequantize_blockILi128ELi1EXadL_ZL15dequantize_q1_0PKvliR15HIP_vector_typeIfLj2EEEEfEvS1_PT2_lllS2_IjLj3EElll
	.p2align	8
	.type	_ZL16dequantize_blockILi128ELi1EXadL_ZL15dequantize_q1_0PKvliR15HIP_vector_typeIfLj2EEEEfEvS1_PT2_lllS2_IjLj3EElll,@function
_ZL16dequantize_blockILi128ELi1EXadL_ZL15dequantize_q1_0PKvliR15HIP_vector_typeIfLj2EEEEfEvS1_PT2_lllS2_IjLj3EElll: ; @_ZL16dequantize_blockILi128ELi1EXadL_ZL15dequantize_q1_0PKvliR15HIP_vector_typeIfLj2EEEEfEvS1_PT2_lllS2_IjLj3EElll
; %bb.0:
	s_clause 0x1
	s_load_b32 s19, s[0:1], 0x5c
	s_load_b128 s[4:7], s[0:1], 0x10
	v_mov_b32_e32 v1, 0
	s_wait_kmcnt 0x0
	s_and_b32 s2, s19, 0xffff
	s_delay_alu instid0(VALU_DEP_1) | instid1(SALU_CYCLE_1)
	v_mad_co_u64_u32 v[1:2], null, s2, ttmp9, v[0:1]
	s_mov_b32 s2, exec_lo
	v_lshlrev_b64_e32 v[3:4], 1, v[1:2]
	s_delay_alu instid0(VALU_DEP_1)
	v_cmpx_gt_i64_e64 s[4:5], v[3:4]
	s_cbranch_execz .LBB55_7
; %bb.1:
	s_load_b64 s[2:3], s[0:1], 0x20
	s_mov_b32 s21, 0
	s_and_b32 s20, ttmp7, 0xffff
	s_delay_alu instid0(SALU_CYCLE_1)
	v_cmp_le_i64_e64 s8, s[6:7], s[20:21]
	s_and_b32 vcc_lo, exec_lo, s8
	s_cbranch_vccnz .LBB55_7
; %bb.2:
	s_mul_i32 s19, ttmp9, s19
	v_lshrrev_b64 v[1:2], 6, v[1:2]
	v_add_nc_u16 v4, s19, v0
	s_clause 0x1
	s_load_b96 s[16:18], s[0:1], 0x28
	s_load_b128 s[8:11], s[0:1], 0x0
	s_lshr_b32 s26, ttmp7, 16
	s_mov_b32 s27, s21
	s_add_nc_u64 s[22:23], s[0:1], 0x50
	s_clause 0x1
	s_load_b128 s[12:15], s[0:1], 0x38
	s_load_b64 s[24:25], s[0:1], 0x48
	s_mul_u64 s[0:1], s[6:7], s[26:27]
	s_load_b32 s30, s[22:23], 0x4
	s_add_nc_u64 s[0:1], s[0:1], s[20:21]
	v_and_b32_e32 v6, 63, v4
	v_lshlrev_b64_e32 v[4:5], 9, v[1:2]
	s_wait_alu 0xfffe
	s_mul_u64 s[0:1], s[4:5], s[0:1]
	v_bfe_u32 v0, v3, 3, 4
	s_wait_alu 0xfffe
	s_lshl_b64 s[0:1], s[0:1], 2
	v_and_b32_e32 v7, 6, v3
	v_lshlrev_b32_e32 v3, 3, v6
	s_wait_alu 0xfffe
	v_add_co_u32 v4, vcc_lo, s0, v4
	s_delay_alu instid0(VALU_DEP_1)
	v_add_co_ci_u32_e64 v5, null, s1, v5, vcc_lo
	s_mov_b32 s31, s21
	v_add_co_u32 v3, vcc_lo, v4, v3
	s_wait_alu 0xfffd
	v_add_co_ci_u32_e64 v4, null, 0, v5, vcc_lo
	v_or_b32_e32 v8, 1, v7
	s_wait_kmcnt 0x0
	v_add_co_u32 v3, vcc_lo, s10, v3
	s_wait_alu 0xfffd
	v_add_co_ci_u32_e64 v4, null, s11, v4, vcc_lo
	s_mul_u64 s[0:1], s[4:5], s[30:31]
	v_add_co_u32 v3, vcc_lo, v3, 4
	s_wait_alu 0xfffe
	s_lshl_b64 s[10:11], s[0:1], 2
	v_cmp_gt_i64_e64 s1, s[2:3], s[26:27]
	s_wait_alu 0xfffd
	v_add_co_ci_u32_e64 v4, null, 0, v4, vcc_lo
	s_mul_u64 s[4:5], s[6:7], s[4:5]
	s_mov_b32 s29, s21
	s_mov_b32 s28, s16
	s_wait_alu 0xfffe
	s_lshl_b64 s[4:5], s[4:5], 2
	s_sub_co_i32 s16, 0, s18
	s_mov_b64 s[18:19], s[20:21]
	s_branch .LBB55_4
.LBB55_3:                               ;   in Loop: Header=BB55_4 Depth=1
	s_add_nc_u64 s[18:19], s[18:19], s[30:31]
	v_add_co_u32 v3, vcc_lo, v3, s10
	s_wait_alu 0xfffe
	v_cmp_ge_i64_e64 s0, s[18:19], s[6:7]
	s_wait_alu 0xfffd
	v_add_co_ci_u32_e64 v4, null, s11, v4, vcc_lo
	s_and_b32 vcc_lo, exec_lo, s0
	s_wait_alu 0xfffe
	s_cbranch_vccnz .LBB55_7
.LBB55_4:                               ; =>This Loop Header: Depth=1
                                        ;     Child Loop BB55_6 Depth 2
	s_and_not1_b32 vcc_lo, exec_lo, s1
	s_wait_alu 0xfffe
	s_cbranch_vccnz .LBB55_3
; %bb.5:                                ;   in Loop: Header=BB55_4 Depth=1
	s_load_b32 s34, s[22:23], 0x8
	v_dual_mov_b32 v6, v4 :: v_dual_mov_b32 v5, v3
	s_mul_u64 s[36:37], s[18:19], s[12:13]
	s_mov_b32 s35, s21
	s_mul_u64 s[36:37], s[36:37], 18
	s_mov_b64 s[40:41], s[26:27]
	s_wait_kmcnt 0x0
	s_mul_u64 s[38:39], s[4:5], s[34:35]
.LBB55_6:                               ;   Parent Loop BB55_4 Depth=1
                                        ; =>  This Inner Loop Header: Depth=2
	s_wait_alu 0xfffe
	s_mov_b32 s20, s40
	s_mov_b32 s43, s21
	s_wait_alu 0xfffe
	s_mul_u64 s[44:45], s[28:29], s[20:21]
	s_delay_alu instid0(SALU_CYCLE_1)
	s_add_co_i32 s0, s40, s45
	s_wait_alu 0xfffe
	s_lshr_b32 s42, s0, s17
	s_wait_alu 0xfffe
	s_mul_i32 s0, s16, s42
	s_mul_u64 s[42:43], s[24:25], s[42:43]
	s_wait_alu 0xfffe
	s_add_co_i32 s20, s40, s0
	s_mul_u64 s[42:43], s[42:43], 18
	s_wait_alu 0xfffe
	s_mul_u64 s[44:45], s[14:15], s[20:21]
	s_add_nc_u64 s[42:43], s[8:9], s[42:43]
	s_mul_u64 s[44:45], s[44:45], 18
	s_add_nc_u64 s[40:41], s[40:41], s[34:35]
	s_wait_alu 0xfffe
	s_add_nc_u64 s[42:43], s[42:43], s[44:45]
	v_cmp_ge_i64_e64 s0, s[40:41], s[2:3]
	s_wait_alu 0xfffe
	s_add_nc_u64 s[42:43], s[42:43], s[36:37]
	s_wait_alu 0xfffe
	v_mad_co_u64_u32 v[9:10], null, v1, 18, s[42:43]
	s_delay_alu instid0(VALU_DEP_1) | instskip(NEXT) | instid1(VALU_DEP_2)
	v_mad_co_u64_u32 v[10:11], null, v2, 18, v[10:11]
	v_add_co_u32 v11, vcc_lo, v9, v0
	s_wait_alu 0xfffd
	s_delay_alu instid0(VALU_DEP_2)
	v_add_co_ci_u32_e64 v12, null, 0, v10, vcc_lo
	s_and_b32 vcc_lo, exec_lo, s0
	s_clause 0x1
	global_load_u8 v11, v[11:12], off offset:2
	global_load_u16 v9, v[9:10], off
	s_wait_loadcnt 0x1
	v_lshrrev_b32_e32 v10, v7, v11
	s_wait_loadcnt 0x0
	v_cvt_f32_f16_e32 v12, v9
	v_lshrrev_b32_e32 v11, v8, v11
	s_delay_alu instid0(VALU_DEP_3) | instskip(NEXT) | instid1(VALU_DEP_1)
	v_lshlrev_b32_e32 v9, 1, v10
	v_and_b32_e32 v9, 2, v9
	s_delay_alu instid0(VALU_DEP_1) | instskip(NEXT) | instid1(VALU_DEP_1)
	v_add_nc_u32_e32 v9, -1, v9
	v_cvt_f32_i32_e32 v9, v9
	s_delay_alu instid0(VALU_DEP_1) | instskip(NEXT) | instid1(VALU_DEP_1)
	v_dual_mul_f32 v9, v12, v9 :: v_dual_lshlrev_b32 v10, 1, v11
	v_and_b32_e32 v10, 2, v10
	s_delay_alu instid0(VALU_DEP_1) | instskip(NEXT) | instid1(VALU_DEP_1)
	v_add_nc_u32_e32 v10, -1, v10
	v_cvt_f32_i32_e32 v10, v10
	s_delay_alu instid0(VALU_DEP_1)
	v_mul_f32_e32 v10, v12, v10
	global_store_b64 v[5:6], v[9:10], off offset:-4
	v_add_co_u32 v5, s0, v5, s38
	s_wait_alu 0xf1ff
	v_add_co_ci_u32_e64 v6, null, s39, v6, s0
	s_wait_alu 0xfffe
	s_cbranch_vccz .LBB55_6
	s_branch .LBB55_3
.LBB55_7:
	s_endpgm
	.section	.rodata,"a",@progbits
	.p2align	6, 0x0
	.amdhsa_kernel _ZL16dequantize_blockILi128ELi1EXadL_ZL15dequantize_q1_0PKvliR15HIP_vector_typeIfLj2EEEEfEvS1_PT2_lllS2_IjLj3EElll
		.amdhsa_group_segment_fixed_size 0
		.amdhsa_private_segment_fixed_size 0
		.amdhsa_kernarg_size 336
		.amdhsa_user_sgpr_count 2
		.amdhsa_user_sgpr_dispatch_ptr 0
		.amdhsa_user_sgpr_queue_ptr 0
		.amdhsa_user_sgpr_kernarg_segment_ptr 1
		.amdhsa_user_sgpr_dispatch_id 0
		.amdhsa_user_sgpr_private_segment_size 0
		.amdhsa_wavefront_size32 1
		.amdhsa_uses_dynamic_stack 0
		.amdhsa_enable_private_segment 0
		.amdhsa_system_sgpr_workgroup_id_x 1
		.amdhsa_system_sgpr_workgroup_id_y 1
		.amdhsa_system_sgpr_workgroup_id_z 1
		.amdhsa_system_sgpr_workgroup_info 0
		.amdhsa_system_vgpr_workitem_id 0
		.amdhsa_next_free_vgpr 13
		.amdhsa_next_free_sgpr 46
		.amdhsa_reserve_vcc 1
		.amdhsa_float_round_mode_32 0
		.amdhsa_float_round_mode_16_64 0
		.amdhsa_float_denorm_mode_32 3
		.amdhsa_float_denorm_mode_16_64 3
		.amdhsa_fp16_overflow 0
		.amdhsa_workgroup_processor_mode 1
		.amdhsa_memory_ordered 1
		.amdhsa_forward_progress 1
		.amdhsa_inst_pref_size 7
		.amdhsa_round_robin_scheduling 0
		.amdhsa_exception_fp_ieee_invalid_op 0
		.amdhsa_exception_fp_denorm_src 0
		.amdhsa_exception_fp_ieee_div_zero 0
		.amdhsa_exception_fp_ieee_overflow 0
		.amdhsa_exception_fp_ieee_underflow 0
		.amdhsa_exception_fp_ieee_inexact 0
		.amdhsa_exception_int_div_zero 0
	.end_amdhsa_kernel
	.section	.text._ZL16dequantize_blockILi128ELi1EXadL_ZL15dequantize_q1_0PKvliR15HIP_vector_typeIfLj2EEEEfEvS1_PT2_lllS2_IjLj3EElll,"axG",@progbits,_ZL16dequantize_blockILi128ELi1EXadL_ZL15dequantize_q1_0PKvliR15HIP_vector_typeIfLj2EEEEfEvS1_PT2_lllS2_IjLj3EElll,comdat
.Lfunc_end55:
	.size	_ZL16dequantize_blockILi128ELi1EXadL_ZL15dequantize_q1_0PKvliR15HIP_vector_typeIfLj2EEEEfEvS1_PT2_lllS2_IjLj3EElll, .Lfunc_end55-_ZL16dequantize_blockILi128ELi1EXadL_ZL15dequantize_q1_0PKvliR15HIP_vector_typeIfLj2EEEEfEvS1_PT2_lllS2_IjLj3EElll
                                        ; -- End function
	.set _ZL16dequantize_blockILi128ELi1EXadL_ZL15dequantize_q1_0PKvliR15HIP_vector_typeIfLj2EEEEfEvS1_PT2_lllS2_IjLj3EElll.num_vgpr, 13
	.set _ZL16dequantize_blockILi128ELi1EXadL_ZL15dequantize_q1_0PKvliR15HIP_vector_typeIfLj2EEEEfEvS1_PT2_lllS2_IjLj3EElll.num_agpr, 0
	.set _ZL16dequantize_blockILi128ELi1EXadL_ZL15dequantize_q1_0PKvliR15HIP_vector_typeIfLj2EEEEfEvS1_PT2_lllS2_IjLj3EElll.numbered_sgpr, 46
	.set _ZL16dequantize_blockILi128ELi1EXadL_ZL15dequantize_q1_0PKvliR15HIP_vector_typeIfLj2EEEEfEvS1_PT2_lllS2_IjLj3EElll.num_named_barrier, 0
	.set _ZL16dequantize_blockILi128ELi1EXadL_ZL15dequantize_q1_0PKvliR15HIP_vector_typeIfLj2EEEEfEvS1_PT2_lllS2_IjLj3EElll.private_seg_size, 0
	.set _ZL16dequantize_blockILi128ELi1EXadL_ZL15dequantize_q1_0PKvliR15HIP_vector_typeIfLj2EEEEfEvS1_PT2_lllS2_IjLj3EElll.uses_vcc, 1
	.set _ZL16dequantize_blockILi128ELi1EXadL_ZL15dequantize_q1_0PKvliR15HIP_vector_typeIfLj2EEEEfEvS1_PT2_lllS2_IjLj3EElll.uses_flat_scratch, 0
	.set _ZL16dequantize_blockILi128ELi1EXadL_ZL15dequantize_q1_0PKvliR15HIP_vector_typeIfLj2EEEEfEvS1_PT2_lllS2_IjLj3EElll.has_dyn_sized_stack, 0
	.set _ZL16dequantize_blockILi128ELi1EXadL_ZL15dequantize_q1_0PKvliR15HIP_vector_typeIfLj2EEEEfEvS1_PT2_lllS2_IjLj3EElll.has_recursion, 0
	.set _ZL16dequantize_blockILi128ELi1EXadL_ZL15dequantize_q1_0PKvliR15HIP_vector_typeIfLj2EEEEfEvS1_PT2_lllS2_IjLj3EElll.has_indirect_call, 0
	.section	.AMDGPU.csdata,"",@progbits
; Kernel info:
; codeLenInByte = 804
; TotalNumSgprs: 48
; NumVgprs: 13
; ScratchSize: 0
; MemoryBound: 0
; FloatMode: 240
; IeeeMode: 1
; LDSByteSize: 0 bytes/workgroup (compile time only)
; SGPRBlocks: 0
; VGPRBlocks: 1
; NumSGPRsForWavesPerEU: 48
; NumVGPRsForWavesPerEU: 13
; Occupancy: 16
; WaveLimiterHint : 0
; COMPUTE_PGM_RSRC2:SCRATCH_EN: 0
; COMPUTE_PGM_RSRC2:USER_SGPR: 2
; COMPUTE_PGM_RSRC2:TRAP_HANDLER: 0
; COMPUTE_PGM_RSRC2:TGID_X_EN: 1
; COMPUTE_PGM_RSRC2:TGID_Y_EN: 1
; COMPUTE_PGM_RSRC2:TGID_Z_EN: 1
; COMPUTE_PGM_RSRC2:TIDIG_COMP_CNT: 0
	.section	.text._ZL16dequantize_blockILi32ELi2EXadL_ZL15dequantize_q4_0PKvliR15HIP_vector_typeIfLj2EEEEfEvS1_PT2_lllS2_IjLj3EElll,"axG",@progbits,_ZL16dequantize_blockILi32ELi2EXadL_ZL15dequantize_q4_0PKvliR15HIP_vector_typeIfLj2EEEEfEvS1_PT2_lllS2_IjLj3EElll,comdat
	.globl	_ZL16dequantize_blockILi32ELi2EXadL_ZL15dequantize_q4_0PKvliR15HIP_vector_typeIfLj2EEEEfEvS1_PT2_lllS2_IjLj3EElll ; -- Begin function _ZL16dequantize_blockILi32ELi2EXadL_ZL15dequantize_q4_0PKvliR15HIP_vector_typeIfLj2EEEEfEvS1_PT2_lllS2_IjLj3EElll
	.p2align	8
	.type	_ZL16dequantize_blockILi32ELi2EXadL_ZL15dequantize_q4_0PKvliR15HIP_vector_typeIfLj2EEEEfEvS1_PT2_lllS2_IjLj3EElll,@function
_ZL16dequantize_blockILi32ELi2EXadL_ZL15dequantize_q4_0PKvliR15HIP_vector_typeIfLj2EEEEfEvS1_PT2_lllS2_IjLj3EElll: ; @_ZL16dequantize_blockILi32ELi2EXadL_ZL15dequantize_q4_0PKvliR15HIP_vector_typeIfLj2EEEEfEvS1_PT2_lllS2_IjLj3EElll
; %bb.0:
	s_clause 0x1
	s_load_b32 s2, s[0:1], 0x5c
	s_load_b128 s[4:7], s[0:1], 0x10
	v_mov_b32_e32 v1, 0
	s_wait_kmcnt 0x0
	s_and_b32 s2, s2, 0xffff
	s_delay_alu instid0(VALU_DEP_1) | instid1(SALU_CYCLE_1)
	v_mad_co_u64_u32 v[2:3], null, s2, ttmp9, v[0:1]
	s_mov_b32 s2, exec_lo
	v_lshlrev_b64_e32 v[0:1], 1, v[2:3]
	s_delay_alu instid0(VALU_DEP_1)
	v_cmpx_gt_i64_e64 s[4:5], v[0:1]
	s_cbranch_execz .LBB56_7
; %bb.1:
	s_load_b64 s[2:3], s[0:1], 0x20
	s_mov_b32 s21, 0
	s_and_b32 s20, ttmp7, 0xffff
	s_delay_alu instid0(SALU_CYCLE_1)
	v_cmp_le_i64_e64 s8, s[6:7], s[20:21]
	s_and_b32 vcc_lo, exec_lo, s8
	s_cbranch_vccnz .LBB56_7
; %bb.2:
	v_lshrrev_b64 v[0:1], 4, v[2:3]
	s_clause 0x1
	s_load_b96 s[16:18], s[0:1], 0x28
	s_load_b128 s[8:11], s[0:1], 0x0
	s_lshr_b32 s24, ttmp7, 16
	s_mov_b32 s25, s21
	s_add_nc_u64 s[22:23], s[0:1], 0x50
	s_mul_u64 s[12:13], s[6:7], s[24:25]
	v_and_b32_e32 v6, 15, v2
	s_load_b32 s26, s[22:23], 0x4
	s_add_nc_u64 s[30:31], s[12:13], s[20:21]
	v_lshlrev_b64_e32 v[2:3], 7, v[0:1]
	s_clause 0x1
	s_load_b128 s[12:15], s[0:1], 0x38
	s_load_b64 s[28:29], s[0:1], 0x48
	s_mul_u64 s[0:1], s[4:5], s[30:31]
	v_lshlrev_b32_e32 v4, 2, v6
	s_wait_alu 0xfffe
	s_lshl_b64 s[0:1], s[0:1], 2
	s_mov_b32 s27, s21
	s_wait_alu 0xfffe
	v_add_co_u32 v2, vcc_lo, s0, v2
	s_delay_alu instid0(VALU_DEP_1)
	v_add_co_ci_u32_e64 v3, null, s1, v3, vcc_lo
	s_mov_b32 s31, s21
	v_add_co_u32 v2, vcc_lo, v2, v4
	s_wait_alu 0xfffd
	v_add_co_ci_u32_e64 v3, null, 0, v3, vcc_lo
	s_wait_kmcnt 0x0
	s_mov_b32 s30, s16
	v_add_co_u32 v2, vcc_lo, s10, v2
	s_wait_alu 0xfffd
	v_add_co_ci_u32_e64 v3, null, s11, v3, vcc_lo
	s_mul_u64 s[0:1], s[4:5], s[26:27]
	v_add_co_u32 v2, vcc_lo, v2, 64
	s_wait_alu 0xfffe
	s_lshl_b64 s[10:11], s[0:1], 2
	v_cmp_gt_i64_e64 s1, s[2:3], s[24:25]
	s_wait_alu 0xfffd
	v_add_co_ci_u32_e64 v3, null, 0, v3, vcc_lo
	s_mul_u64 s[4:5], s[6:7], s[4:5]
	s_sub_co_i32 s16, 0, s18
	s_wait_alu 0xfffe
	s_lshl_b64 s[4:5], s[4:5], 2
	s_mov_b64 s[18:19], s[20:21]
	s_branch .LBB56_4
.LBB56_3:                               ;   in Loop: Header=BB56_4 Depth=1
	s_add_nc_u64 s[18:19], s[18:19], s[26:27]
	v_add_co_u32 v2, vcc_lo, v2, s10
	s_wait_alu 0xfffe
	v_cmp_ge_i64_e64 s0, s[18:19], s[6:7]
	s_wait_alu 0xfffd
	v_add_co_ci_u32_e64 v3, null, s11, v3, vcc_lo
	s_and_b32 vcc_lo, exec_lo, s0
	s_wait_alu 0xfffe
	s_cbranch_vccnz .LBB56_7
.LBB56_4:                               ; =>This Loop Header: Depth=1
                                        ;     Child Loop BB56_6 Depth 2
	s_and_not1_b32 vcc_lo, exec_lo, s1
	s_wait_alu 0xfffe
	s_cbranch_vccnz .LBB56_3
; %bb.5:                                ;   in Loop: Header=BB56_4 Depth=1
	s_load_b32 s34, s[22:23], 0x8
	v_dual_mov_b32 v5, v3 :: v_dual_mov_b32 v4, v2
	s_mul_u64 s[36:37], s[18:19], s[12:13]
	s_mov_b32 s35, s21
	s_mul_u64 s[36:37], s[36:37], 18
	s_mov_b64 s[40:41], s[24:25]
	s_wait_kmcnt 0x0
	s_mul_u64 s[38:39], s[4:5], s[34:35]
.LBB56_6:                               ;   Parent Loop BB56_4 Depth=1
                                        ; =>  This Inner Loop Header: Depth=2
	s_wait_alu 0xfffe
	s_mov_b32 s20, s40
	s_mov_b32 s43, s21
	s_wait_alu 0xfffe
	s_mul_u64 s[44:45], s[30:31], s[20:21]
	s_delay_alu instid0(SALU_CYCLE_1)
	s_add_co_i32 s0, s40, s45
	s_wait_alu 0xfffe
	s_lshr_b32 s42, s0, s17
	s_wait_alu 0xfffe
	s_mul_i32 s0, s16, s42
	s_mul_u64 s[42:43], s[28:29], s[42:43]
	s_wait_alu 0xfffe
	s_add_co_i32 s20, s40, s0
	s_mul_u64 s[42:43], s[42:43], 18
	s_wait_alu 0xfffe
	s_mul_u64 s[44:45], s[14:15], s[20:21]
	s_add_nc_u64 s[42:43], s[8:9], s[42:43]
	s_mul_u64 s[44:45], s[44:45], 18
	s_add_nc_u64 s[40:41], s[40:41], s[34:35]
	s_wait_alu 0xfffe
	s_add_nc_u64 s[42:43], s[42:43], s[44:45]
	v_cmp_ge_i64_e64 s0, s[40:41], s[2:3]
	s_wait_alu 0xfffe
	s_add_nc_u64 s[42:43], s[42:43], s[36:37]
	s_wait_alu 0xfffe
	v_mad_co_u64_u32 v[7:8], null, v0, 18, s[42:43]
	s_delay_alu instid0(VALU_DEP_1) | instskip(NEXT) | instid1(VALU_DEP_2)
	v_mad_co_u64_u32 v[8:9], null, v1, 18, v[8:9]
	v_add_co_u32 v9, vcc_lo, v7, v6
	s_wait_alu 0xfffd
	s_delay_alu instid0(VALU_DEP_2)
	v_add_co_ci_u32_e64 v10, null, 0, v8, vcc_lo
	s_and_b32 vcc_lo, exec_lo, s0
	s_clause 0x1
	global_load_u8 v9, v[9:10], off offset:2
	global_load_u16 v7, v[7:8], off
	s_wait_loadcnt 0x1
	v_and_b32_e32 v8, 15, v9
	v_lshrrev_b32_e32 v9, 4, v9
	s_wait_loadcnt 0x0
	v_cvt_f32_f16_e32 v7, v7
	s_delay_alu instid0(VALU_DEP_2) | instskip(NEXT) | instid1(VALU_DEP_1)
	v_add_nc_u32_e32 v9, -8, v9
	v_cvt_f32_i32_e32 v9, v9
	v_add_nc_u32_e32 v8, -8, v8
	s_delay_alu instid0(VALU_DEP_1) | instskip(NEXT) | instid1(VALU_DEP_1)
	v_cvt_f32_i32_e32 v8, v8
	v_mul_f32_e32 v8, v7, v8
	s_delay_alu instid0(VALU_DEP_4)
	v_mul_f32_e32 v7, v7, v9
	s_clause 0x1
	global_store_b32 v[4:5], v8, off offset:-64
	global_store_b32 v[4:5], v7, off
	v_add_co_u32 v4, s0, v4, s38
	s_wait_alu 0xf1ff
	v_add_co_ci_u32_e64 v5, null, s39, v5, s0
	s_wait_alu 0xfffe
	s_cbranch_vccz .LBB56_6
	s_branch .LBB56_3
.LBB56_7:
	s_endpgm
	.section	.rodata,"a",@progbits
	.p2align	6, 0x0
	.amdhsa_kernel _ZL16dequantize_blockILi32ELi2EXadL_ZL15dequantize_q4_0PKvliR15HIP_vector_typeIfLj2EEEEfEvS1_PT2_lllS2_IjLj3EElll
		.amdhsa_group_segment_fixed_size 0
		.amdhsa_private_segment_fixed_size 0
		.amdhsa_kernarg_size 336
		.amdhsa_user_sgpr_count 2
		.amdhsa_user_sgpr_dispatch_ptr 0
		.amdhsa_user_sgpr_queue_ptr 0
		.amdhsa_user_sgpr_kernarg_segment_ptr 1
		.amdhsa_user_sgpr_dispatch_id 0
		.amdhsa_user_sgpr_private_segment_size 0
		.amdhsa_wavefront_size32 1
		.amdhsa_uses_dynamic_stack 0
		.amdhsa_enable_private_segment 0
		.amdhsa_system_sgpr_workgroup_id_x 1
		.amdhsa_system_sgpr_workgroup_id_y 1
		.amdhsa_system_sgpr_workgroup_id_z 1
		.amdhsa_system_sgpr_workgroup_info 0
		.amdhsa_system_vgpr_workitem_id 0
		.amdhsa_next_free_vgpr 11
		.amdhsa_next_free_sgpr 46
		.amdhsa_reserve_vcc 1
		.amdhsa_float_round_mode_32 0
		.amdhsa_float_round_mode_16_64 0
		.amdhsa_float_denorm_mode_32 3
		.amdhsa_float_denorm_mode_16_64 3
		.amdhsa_fp16_overflow 0
		.amdhsa_workgroup_processor_mode 1
		.amdhsa_memory_ordered 1
		.amdhsa_forward_progress 1
		.amdhsa_inst_pref_size 6
		.amdhsa_round_robin_scheduling 0
		.amdhsa_exception_fp_ieee_invalid_op 0
		.amdhsa_exception_fp_denorm_src 0
		.amdhsa_exception_fp_ieee_div_zero 0
		.amdhsa_exception_fp_ieee_overflow 0
		.amdhsa_exception_fp_ieee_underflow 0
		.amdhsa_exception_fp_ieee_inexact 0
		.amdhsa_exception_int_div_zero 0
	.end_amdhsa_kernel
	.section	.text._ZL16dequantize_blockILi32ELi2EXadL_ZL15dequantize_q4_0PKvliR15HIP_vector_typeIfLj2EEEEfEvS1_PT2_lllS2_IjLj3EElll,"axG",@progbits,_ZL16dequantize_blockILi32ELi2EXadL_ZL15dequantize_q4_0PKvliR15HIP_vector_typeIfLj2EEEEfEvS1_PT2_lllS2_IjLj3EElll,comdat
.Lfunc_end56:
	.size	_ZL16dequantize_blockILi32ELi2EXadL_ZL15dequantize_q4_0PKvliR15HIP_vector_typeIfLj2EEEEfEvS1_PT2_lllS2_IjLj3EElll, .Lfunc_end56-_ZL16dequantize_blockILi32ELi2EXadL_ZL15dequantize_q4_0PKvliR15HIP_vector_typeIfLj2EEEEfEvS1_PT2_lllS2_IjLj3EElll
                                        ; -- End function
	.set _ZL16dequantize_blockILi32ELi2EXadL_ZL15dequantize_q4_0PKvliR15HIP_vector_typeIfLj2EEEEfEvS1_PT2_lllS2_IjLj3EElll.num_vgpr, 11
	.set _ZL16dequantize_blockILi32ELi2EXadL_ZL15dequantize_q4_0PKvliR15HIP_vector_typeIfLj2EEEEfEvS1_PT2_lllS2_IjLj3EElll.num_agpr, 0
	.set _ZL16dequantize_blockILi32ELi2EXadL_ZL15dequantize_q4_0PKvliR15HIP_vector_typeIfLj2EEEEfEvS1_PT2_lllS2_IjLj3EElll.numbered_sgpr, 46
	.set _ZL16dequantize_blockILi32ELi2EXadL_ZL15dequantize_q4_0PKvliR15HIP_vector_typeIfLj2EEEEfEvS1_PT2_lllS2_IjLj3EElll.num_named_barrier, 0
	.set _ZL16dequantize_blockILi32ELi2EXadL_ZL15dequantize_q4_0PKvliR15HIP_vector_typeIfLj2EEEEfEvS1_PT2_lllS2_IjLj3EElll.private_seg_size, 0
	.set _ZL16dequantize_blockILi32ELi2EXadL_ZL15dequantize_q4_0PKvliR15HIP_vector_typeIfLj2EEEEfEvS1_PT2_lllS2_IjLj3EElll.uses_vcc, 1
	.set _ZL16dequantize_blockILi32ELi2EXadL_ZL15dequantize_q4_0PKvliR15HIP_vector_typeIfLj2EEEEfEvS1_PT2_lllS2_IjLj3EElll.uses_flat_scratch, 0
	.set _ZL16dequantize_blockILi32ELi2EXadL_ZL15dequantize_q4_0PKvliR15HIP_vector_typeIfLj2EEEEfEvS1_PT2_lllS2_IjLj3EElll.has_dyn_sized_stack, 0
	.set _ZL16dequantize_blockILi32ELi2EXadL_ZL15dequantize_q4_0PKvliR15HIP_vector_typeIfLj2EEEEfEvS1_PT2_lllS2_IjLj3EElll.has_recursion, 0
	.set _ZL16dequantize_blockILi32ELi2EXadL_ZL15dequantize_q4_0PKvliR15HIP_vector_typeIfLj2EEEEfEvS1_PT2_lllS2_IjLj3EElll.has_indirect_call, 0
	.section	.AMDGPU.csdata,"",@progbits
; Kernel info:
; codeLenInByte = 764
; TotalNumSgprs: 48
; NumVgprs: 11
; ScratchSize: 0
; MemoryBound: 0
; FloatMode: 240
; IeeeMode: 1
; LDSByteSize: 0 bytes/workgroup (compile time only)
; SGPRBlocks: 0
; VGPRBlocks: 1
; NumSGPRsForWavesPerEU: 48
; NumVGPRsForWavesPerEU: 11
; Occupancy: 16
; WaveLimiterHint : 0
; COMPUTE_PGM_RSRC2:SCRATCH_EN: 0
; COMPUTE_PGM_RSRC2:USER_SGPR: 2
; COMPUTE_PGM_RSRC2:TRAP_HANDLER: 0
; COMPUTE_PGM_RSRC2:TGID_X_EN: 1
; COMPUTE_PGM_RSRC2:TGID_Y_EN: 1
; COMPUTE_PGM_RSRC2:TGID_Z_EN: 1
; COMPUTE_PGM_RSRC2:TIDIG_COMP_CNT: 0
	.section	.text._ZL16dequantize_blockILi32ELi2EXadL_ZL15dequantize_q4_1PKvliR15HIP_vector_typeIfLj2EEEEfEvS1_PT2_lllS2_IjLj3EElll,"axG",@progbits,_ZL16dequantize_blockILi32ELi2EXadL_ZL15dequantize_q4_1PKvliR15HIP_vector_typeIfLj2EEEEfEvS1_PT2_lllS2_IjLj3EElll,comdat
	.globl	_ZL16dequantize_blockILi32ELi2EXadL_ZL15dequantize_q4_1PKvliR15HIP_vector_typeIfLj2EEEEfEvS1_PT2_lllS2_IjLj3EElll ; -- Begin function _ZL16dequantize_blockILi32ELi2EXadL_ZL15dequantize_q4_1PKvliR15HIP_vector_typeIfLj2EEEEfEvS1_PT2_lllS2_IjLj3EElll
	.p2align	8
	.type	_ZL16dequantize_blockILi32ELi2EXadL_ZL15dequantize_q4_1PKvliR15HIP_vector_typeIfLj2EEEEfEvS1_PT2_lllS2_IjLj3EElll,@function
_ZL16dequantize_blockILi32ELi2EXadL_ZL15dequantize_q4_1PKvliR15HIP_vector_typeIfLj2EEEEfEvS1_PT2_lllS2_IjLj3EElll: ; @_ZL16dequantize_blockILi32ELi2EXadL_ZL15dequantize_q4_1PKvliR15HIP_vector_typeIfLj2EEEEfEvS1_PT2_lllS2_IjLj3EElll
; %bb.0:
	s_clause 0x1
	s_load_b32 s2, s[0:1], 0x5c
	s_load_b128 s[4:7], s[0:1], 0x10
	v_mov_b32_e32 v1, 0
	s_wait_kmcnt 0x0
	s_and_b32 s2, s2, 0xffff
	s_delay_alu instid0(VALU_DEP_1) | instid1(SALU_CYCLE_1)
	v_mad_co_u64_u32 v[2:3], null, s2, ttmp9, v[0:1]
	s_mov_b32 s2, exec_lo
	v_lshlrev_b64_e32 v[0:1], 1, v[2:3]
	s_delay_alu instid0(VALU_DEP_1)
	v_cmpx_gt_i64_e64 s[4:5], v[0:1]
	s_cbranch_execz .LBB57_7
; %bb.1:
	s_load_b64 s[2:3], s[0:1], 0x20
	s_mov_b32 s21, 0
	s_and_b32 s20, ttmp7, 0xffff
	s_delay_alu instid0(SALU_CYCLE_1)
	v_cmp_le_i64_e64 s8, s[6:7], s[20:21]
	s_and_b32 vcc_lo, exec_lo, s8
	s_cbranch_vccnz .LBB57_7
; %bb.2:
	v_lshrrev_b64 v[0:1], 4, v[2:3]
	s_clause 0x1
	s_load_b96 s[16:18], s[0:1], 0x28
	s_load_b128 s[8:11], s[0:1], 0x0
	s_lshr_b32 s24, ttmp7, 16
	s_mov_b32 s25, s21
	s_add_nc_u64 s[22:23], s[0:1], 0x50
	s_mul_u64 s[12:13], s[6:7], s[24:25]
	v_and_b32_e32 v6, 15, v2
	s_load_b32 s26, s[22:23], 0x4
	s_add_nc_u64 s[30:31], s[12:13], s[20:21]
	v_lshlrev_b64_e32 v[2:3], 7, v[0:1]
	s_clause 0x1
	s_load_b128 s[12:15], s[0:1], 0x38
	s_load_b64 s[28:29], s[0:1], 0x48
	s_mul_u64 s[0:1], s[4:5], s[30:31]
	v_lshlrev_b32_e32 v4, 2, v6
	s_wait_alu 0xfffe
	s_lshl_b64 s[0:1], s[0:1], 2
	s_mov_b32 s27, s21
	s_wait_alu 0xfffe
	v_add_co_u32 v2, vcc_lo, s0, v2
	s_delay_alu instid0(VALU_DEP_1)
	v_add_co_ci_u32_e64 v3, null, s1, v3, vcc_lo
	s_mov_b32 s31, s21
	v_add_co_u32 v2, vcc_lo, v2, v4
	s_wait_alu 0xfffd
	v_add_co_ci_u32_e64 v3, null, 0, v3, vcc_lo
	s_wait_kmcnt 0x0
	s_mov_b32 s30, s16
	v_add_co_u32 v2, vcc_lo, s10, v2
	s_wait_alu 0xfffd
	v_add_co_ci_u32_e64 v3, null, s11, v3, vcc_lo
	s_mul_u64 s[0:1], s[4:5], s[26:27]
	v_add_co_u32 v2, vcc_lo, v2, 64
	s_wait_alu 0xfffe
	s_lshl_b64 s[10:11], s[0:1], 2
	v_cmp_gt_i64_e64 s1, s[2:3], s[24:25]
	s_wait_alu 0xfffd
	v_add_co_ci_u32_e64 v3, null, 0, v3, vcc_lo
	s_mul_u64 s[4:5], s[6:7], s[4:5]
	s_sub_co_i32 s16, 0, s18
	s_wait_alu 0xfffe
	s_lshl_b64 s[4:5], s[4:5], 2
	s_mov_b64 s[18:19], s[20:21]
	s_branch .LBB57_4
.LBB57_3:                               ;   in Loop: Header=BB57_4 Depth=1
	s_add_nc_u64 s[18:19], s[18:19], s[26:27]
	v_add_co_u32 v2, vcc_lo, v2, s10
	s_wait_alu 0xfffe
	v_cmp_ge_i64_e64 s0, s[18:19], s[6:7]
	s_wait_alu 0xfffd
	v_add_co_ci_u32_e64 v3, null, s11, v3, vcc_lo
	s_and_b32 vcc_lo, exec_lo, s0
	s_wait_alu 0xfffe
	s_cbranch_vccnz .LBB57_7
.LBB57_4:                               ; =>This Loop Header: Depth=1
                                        ;     Child Loop BB57_6 Depth 2
	s_and_not1_b32 vcc_lo, exec_lo, s1
	s_wait_alu 0xfffe
	s_cbranch_vccnz .LBB57_3
; %bb.5:                                ;   in Loop: Header=BB57_4 Depth=1
	s_load_b32 s34, s[22:23], 0x8
	v_dual_mov_b32 v5, v3 :: v_dual_mov_b32 v4, v2
	s_mul_u64 s[36:37], s[18:19], s[12:13]
	s_mov_b32 s35, s21
	s_mul_u64 s[36:37], s[36:37], 20
	s_mov_b64 s[40:41], s[24:25]
	s_wait_kmcnt 0x0
	s_mul_u64 s[38:39], s[4:5], s[34:35]
.LBB57_6:                               ;   Parent Loop BB57_4 Depth=1
                                        ; =>  This Inner Loop Header: Depth=2
	s_wait_alu 0xfffe
	s_mov_b32 s20, s40
	s_mov_b32 s43, s21
	s_wait_alu 0xfffe
	s_mul_u64 s[44:45], s[30:31], s[20:21]
	s_delay_alu instid0(SALU_CYCLE_1)
	s_add_co_i32 s0, s40, s45
	s_wait_alu 0xfffe
	s_lshr_b32 s42, s0, s17
	s_wait_alu 0xfffe
	s_mul_i32 s0, s16, s42
	s_mul_u64 s[42:43], s[28:29], s[42:43]
	s_wait_alu 0xfffe
	s_add_co_i32 s20, s40, s0
	s_mul_u64 s[42:43], s[42:43], 20
	s_wait_alu 0xfffe
	s_mul_u64 s[44:45], s[14:15], s[20:21]
	s_add_nc_u64 s[42:43], s[8:9], s[42:43]
	s_mul_u64 s[44:45], s[44:45], 20
	s_add_nc_u64 s[40:41], s[40:41], s[34:35]
	s_wait_alu 0xfffe
	s_add_nc_u64 s[42:43], s[42:43], s[44:45]
	v_cmp_ge_i64_e64 s0, s[40:41], s[2:3]
	s_wait_alu 0xfffe
	s_add_nc_u64 s[42:43], s[42:43], s[36:37]
	s_wait_alu 0xfffe
	v_mad_co_u64_u32 v[7:8], null, v0, 20, s[42:43]
	s_delay_alu instid0(VALU_DEP_1) | instskip(NEXT) | instid1(VALU_DEP_2)
	v_mad_co_u64_u32 v[8:9], null, v1, 20, v[8:9]
	v_add_co_u32 v9, vcc_lo, v7, v6
	s_wait_alu 0xfffd
	s_delay_alu instid0(VALU_DEP_2)
	v_add_co_ci_u32_e64 v10, null, 0, v8, vcc_lo
	s_and_b32 vcc_lo, exec_lo, s0
	s_clause 0x1
	global_load_u8 v9, v[9:10], off offset:4
	global_load_b32 v7, v[7:8], off
	s_wait_loadcnt 0x1
	v_and_b32_e32 v8, 15, v9
	v_lshrrev_b32_e32 v9, 4, v9
	s_delay_alu instid0(VALU_DEP_2) | instskip(NEXT) | instid1(VALU_DEP_2)
	v_cvt_f32_ubyte0_e32 v8, v8
	v_cvt_f32_ubyte0_e32 v9, v9
	s_wait_loadcnt 0x0
	s_delay_alu instid0(VALU_DEP_2) | instskip(NEXT) | instid1(VALU_DEP_2)
	v_fma_mix_f32 v8, v7, v8, v7 op_sel:[0,0,1] op_sel_hi:[1,0,1]
	v_fma_mix_f32 v7, v7, v9, v7 op_sel:[0,0,1] op_sel_hi:[1,0,1]
	s_clause 0x1
	global_store_b32 v[4:5], v8, off offset:-64
	global_store_b32 v[4:5], v7, off
	v_add_co_u32 v4, s0, v4, s38
	s_wait_alu 0xf1ff
	v_add_co_ci_u32_e64 v5, null, s39, v5, s0
	s_wait_alu 0xfffe
	s_cbranch_vccz .LBB57_6
	s_branch .LBB57_3
.LBB57_7:
	s_endpgm
	.section	.rodata,"a",@progbits
	.p2align	6, 0x0
	.amdhsa_kernel _ZL16dequantize_blockILi32ELi2EXadL_ZL15dequantize_q4_1PKvliR15HIP_vector_typeIfLj2EEEEfEvS1_PT2_lllS2_IjLj3EElll
		.amdhsa_group_segment_fixed_size 0
		.amdhsa_private_segment_fixed_size 0
		.amdhsa_kernarg_size 336
		.amdhsa_user_sgpr_count 2
		.amdhsa_user_sgpr_dispatch_ptr 0
		.amdhsa_user_sgpr_queue_ptr 0
		.amdhsa_user_sgpr_kernarg_segment_ptr 1
		.amdhsa_user_sgpr_dispatch_id 0
		.amdhsa_user_sgpr_private_segment_size 0
		.amdhsa_wavefront_size32 1
		.amdhsa_uses_dynamic_stack 0
		.amdhsa_enable_private_segment 0
		.amdhsa_system_sgpr_workgroup_id_x 1
		.amdhsa_system_sgpr_workgroup_id_y 1
		.amdhsa_system_sgpr_workgroup_id_z 1
		.amdhsa_system_sgpr_workgroup_info 0
		.amdhsa_system_vgpr_workitem_id 0
		.amdhsa_next_free_vgpr 11
		.amdhsa_next_free_sgpr 46
		.amdhsa_reserve_vcc 1
		.amdhsa_float_round_mode_32 0
		.amdhsa_float_round_mode_16_64 0
		.amdhsa_float_denorm_mode_32 3
		.amdhsa_float_denorm_mode_16_64 3
		.amdhsa_fp16_overflow 0
		.amdhsa_workgroup_processor_mode 1
		.amdhsa_memory_ordered 1
		.amdhsa_forward_progress 1
		.amdhsa_inst_pref_size 6
		.amdhsa_round_robin_scheduling 0
		.amdhsa_exception_fp_ieee_invalid_op 0
		.amdhsa_exception_fp_denorm_src 0
		.amdhsa_exception_fp_ieee_div_zero 0
		.amdhsa_exception_fp_ieee_overflow 0
		.amdhsa_exception_fp_ieee_underflow 0
		.amdhsa_exception_fp_ieee_inexact 0
		.amdhsa_exception_int_div_zero 0
	.end_amdhsa_kernel
	.section	.text._ZL16dequantize_blockILi32ELi2EXadL_ZL15dequantize_q4_1PKvliR15HIP_vector_typeIfLj2EEEEfEvS1_PT2_lllS2_IjLj3EElll,"axG",@progbits,_ZL16dequantize_blockILi32ELi2EXadL_ZL15dequantize_q4_1PKvliR15HIP_vector_typeIfLj2EEEEfEvS1_PT2_lllS2_IjLj3EElll,comdat
.Lfunc_end57:
	.size	_ZL16dequantize_blockILi32ELi2EXadL_ZL15dequantize_q4_1PKvliR15HIP_vector_typeIfLj2EEEEfEvS1_PT2_lllS2_IjLj3EElll, .Lfunc_end57-_ZL16dequantize_blockILi32ELi2EXadL_ZL15dequantize_q4_1PKvliR15HIP_vector_typeIfLj2EEEEfEvS1_PT2_lllS2_IjLj3EElll
                                        ; -- End function
	.set _ZL16dequantize_blockILi32ELi2EXadL_ZL15dequantize_q4_1PKvliR15HIP_vector_typeIfLj2EEEEfEvS1_PT2_lllS2_IjLj3EElll.num_vgpr, 11
	.set _ZL16dequantize_blockILi32ELi2EXadL_ZL15dequantize_q4_1PKvliR15HIP_vector_typeIfLj2EEEEfEvS1_PT2_lllS2_IjLj3EElll.num_agpr, 0
	.set _ZL16dequantize_blockILi32ELi2EXadL_ZL15dequantize_q4_1PKvliR15HIP_vector_typeIfLj2EEEEfEvS1_PT2_lllS2_IjLj3EElll.numbered_sgpr, 46
	.set _ZL16dequantize_blockILi32ELi2EXadL_ZL15dequantize_q4_1PKvliR15HIP_vector_typeIfLj2EEEEfEvS1_PT2_lllS2_IjLj3EElll.num_named_barrier, 0
	.set _ZL16dequantize_blockILi32ELi2EXadL_ZL15dequantize_q4_1PKvliR15HIP_vector_typeIfLj2EEEEfEvS1_PT2_lllS2_IjLj3EElll.private_seg_size, 0
	.set _ZL16dequantize_blockILi32ELi2EXadL_ZL15dequantize_q4_1PKvliR15HIP_vector_typeIfLj2EEEEfEvS1_PT2_lllS2_IjLj3EElll.uses_vcc, 1
	.set _ZL16dequantize_blockILi32ELi2EXadL_ZL15dequantize_q4_1PKvliR15HIP_vector_typeIfLj2EEEEfEvS1_PT2_lllS2_IjLj3EElll.uses_flat_scratch, 0
	.set _ZL16dequantize_blockILi32ELi2EXadL_ZL15dequantize_q4_1PKvliR15HIP_vector_typeIfLj2EEEEfEvS1_PT2_lllS2_IjLj3EElll.has_dyn_sized_stack, 0
	.set _ZL16dequantize_blockILi32ELi2EXadL_ZL15dequantize_q4_1PKvliR15HIP_vector_typeIfLj2EEEEfEvS1_PT2_lllS2_IjLj3EElll.has_recursion, 0
	.set _ZL16dequantize_blockILi32ELi2EXadL_ZL15dequantize_q4_1PKvliR15HIP_vector_typeIfLj2EEEEfEvS1_PT2_lllS2_IjLj3EElll.has_indirect_call, 0
	.section	.AMDGPU.csdata,"",@progbits
; Kernel info:
; codeLenInByte = 756
; TotalNumSgprs: 48
; NumVgprs: 11
; ScratchSize: 0
; MemoryBound: 0
; FloatMode: 240
; IeeeMode: 1
; LDSByteSize: 0 bytes/workgroup (compile time only)
; SGPRBlocks: 0
; VGPRBlocks: 1
; NumSGPRsForWavesPerEU: 48
; NumVGPRsForWavesPerEU: 11
; Occupancy: 16
; WaveLimiterHint : 0
; COMPUTE_PGM_RSRC2:SCRATCH_EN: 0
; COMPUTE_PGM_RSRC2:USER_SGPR: 2
; COMPUTE_PGM_RSRC2:TRAP_HANDLER: 0
; COMPUTE_PGM_RSRC2:TGID_X_EN: 1
; COMPUTE_PGM_RSRC2:TGID_Y_EN: 1
; COMPUTE_PGM_RSRC2:TGID_Z_EN: 1
; COMPUTE_PGM_RSRC2:TIDIG_COMP_CNT: 0
	.section	.text._ZL16dequantize_blockILi32ELi2EXadL_ZL15dequantize_q5_0PKvliR15HIP_vector_typeIfLj2EEEEfEvS1_PT2_lllS2_IjLj3EElll,"axG",@progbits,_ZL16dequantize_blockILi32ELi2EXadL_ZL15dequantize_q5_0PKvliR15HIP_vector_typeIfLj2EEEEfEvS1_PT2_lllS2_IjLj3EElll,comdat
	.globl	_ZL16dequantize_blockILi32ELi2EXadL_ZL15dequantize_q5_0PKvliR15HIP_vector_typeIfLj2EEEEfEvS1_PT2_lllS2_IjLj3EElll ; -- Begin function _ZL16dequantize_blockILi32ELi2EXadL_ZL15dequantize_q5_0PKvliR15HIP_vector_typeIfLj2EEEEfEvS1_PT2_lllS2_IjLj3EElll
	.p2align	8
	.type	_ZL16dequantize_blockILi32ELi2EXadL_ZL15dequantize_q5_0PKvliR15HIP_vector_typeIfLj2EEEEfEvS1_PT2_lllS2_IjLj3EElll,@function
_ZL16dequantize_blockILi32ELi2EXadL_ZL15dequantize_q5_0PKvliR15HIP_vector_typeIfLj2EEEEfEvS1_PT2_lllS2_IjLj3EElll: ; @_ZL16dequantize_blockILi32ELi2EXadL_ZL15dequantize_q5_0PKvliR15HIP_vector_typeIfLj2EEEEfEvS1_PT2_lllS2_IjLj3EElll
; %bb.0:
	s_clause 0x1
	s_load_b32 s2, s[0:1], 0x5c
	s_load_b128 s[4:7], s[0:1], 0x10
	v_mov_b32_e32 v1, 0
	s_wait_kmcnt 0x0
	s_and_b32 s2, s2, 0xffff
	s_delay_alu instid0(VALU_DEP_1) | instid1(SALU_CYCLE_1)
	v_mad_co_u64_u32 v[2:3], null, s2, ttmp9, v[0:1]
	s_mov_b32 s2, exec_lo
	v_lshlrev_b64_e32 v[0:1], 1, v[2:3]
	s_delay_alu instid0(VALU_DEP_1)
	v_cmpx_gt_i64_e64 s[4:5], v[0:1]
	s_cbranch_execz .LBB58_7
; %bb.1:
	s_load_b64 s[2:3], s[0:1], 0x20
	s_mov_b32 s21, 0
	s_and_b32 s20, ttmp7, 0xffff
	s_delay_alu instid0(SALU_CYCLE_1)
	v_cmp_le_i64_e64 s8, s[6:7], s[20:21]
	s_and_b32 vcc_lo, exec_lo, s8
	s_cbranch_vccnz .LBB58_7
; %bb.2:
	v_lshrrev_b64 v[0:1], 4, v[2:3]
	s_clause 0x1
	s_load_b96 s[16:18], s[0:1], 0x28
	s_load_b128 s[8:11], s[0:1], 0x0
	s_lshr_b32 s26, ttmp7, 16
	s_mov_b32 s27, s21
	s_add_nc_u64 s[22:23], s[0:1], 0x50
	s_clause 0x1
	s_load_b128 s[12:15], s[0:1], 0x38
	s_load_b64 s[24:25], s[0:1], 0x48
	s_mul_u64 s[0:1], s[6:7], s[26:27]
	v_and_b32_e32 v6, 15, v2
	s_load_b32 s30, s[22:23], 0x4
	s_add_nc_u64 s[0:1], s[0:1], s[20:21]
	v_lshlrev_b64_e32 v[2:3], 7, v[0:1]
	s_wait_alu 0xfffe
	s_mul_u64 s[0:1], s[4:5], s[0:1]
	v_lshlrev_b32_e32 v4, 2, v6
	s_wait_alu 0xfffe
	s_lshl_b64 s[0:1], s[0:1], 2
	s_mov_b32 s31, s21
	v_add_nc_u32_e32 v7, 12, v6
	s_wait_alu 0xfffe
	v_add_co_u32 v2, vcc_lo, s0, v2
	s_delay_alu instid0(VALU_DEP_1)
	v_add_co_ci_u32_e64 v3, null, s1, v3, vcc_lo
	s_mov_b32 s29, s21
	v_add_co_u32 v2, vcc_lo, v2, v4
	s_wait_alu 0xfffd
	v_add_co_ci_u32_e64 v3, null, 0, v3, vcc_lo
	s_wait_kmcnt 0x0
	s_mov_b32 s28, s16
	v_add_co_u32 v2, vcc_lo, s10, v2
	s_wait_alu 0xfffd
	v_add_co_ci_u32_e64 v3, null, s11, v3, vcc_lo
	s_mul_u64 s[0:1], s[4:5], s[30:31]
	v_add_co_u32 v2, vcc_lo, v2, 64
	s_wait_alu 0xfffe
	s_lshl_b64 s[10:11], s[0:1], 2
	v_cmp_gt_i64_e64 s1, s[2:3], s[26:27]
	s_wait_alu 0xfffd
	v_add_co_ci_u32_e64 v3, null, 0, v3, vcc_lo
	s_mul_u64 s[4:5], s[6:7], s[4:5]
	s_sub_co_i32 s16, 0, s18
	s_wait_alu 0xfffe
	s_lshl_b64 s[4:5], s[4:5], 2
	s_mov_b64 s[18:19], s[20:21]
	s_branch .LBB58_4
.LBB58_3:                               ;   in Loop: Header=BB58_4 Depth=1
	s_add_nc_u64 s[18:19], s[18:19], s[30:31]
	v_add_co_u32 v2, vcc_lo, v2, s10
	s_wait_alu 0xfffe
	v_cmp_ge_i64_e64 s0, s[18:19], s[6:7]
	s_wait_alu 0xfffd
	v_add_co_ci_u32_e64 v3, null, s11, v3, vcc_lo
	s_and_b32 vcc_lo, exec_lo, s0
	s_wait_alu 0xfffe
	s_cbranch_vccnz .LBB58_7
.LBB58_4:                               ; =>This Loop Header: Depth=1
                                        ;     Child Loop BB58_6 Depth 2
	s_and_not1_b32 vcc_lo, exec_lo, s1
	s_wait_alu 0xfffe
	s_cbranch_vccnz .LBB58_3
; %bb.5:                                ;   in Loop: Header=BB58_4 Depth=1
	s_load_b32 s34, s[22:23], 0x8
	v_dual_mov_b32 v5, v3 :: v_dual_mov_b32 v4, v2
	s_mul_u64 s[36:37], s[18:19], s[12:13]
	s_mov_b32 s35, s21
	s_mul_u64 s[36:37], s[36:37], 22
	s_mov_b64 s[40:41], s[26:27]
	s_wait_kmcnt 0x0
	s_mul_u64 s[38:39], s[4:5], s[34:35]
.LBB58_6:                               ;   Parent Loop BB58_4 Depth=1
                                        ; =>  This Inner Loop Header: Depth=2
	s_wait_alu 0xfffe
	s_mov_b32 s20, s40
	s_mov_b32 s43, s21
	s_wait_alu 0xfffe
	s_mul_u64 s[44:45], s[28:29], s[20:21]
	s_delay_alu instid0(SALU_CYCLE_1)
	s_add_co_i32 s0, s40, s45
	s_wait_alu 0xfffe
	s_lshr_b32 s42, s0, s17
	s_wait_alu 0xfffe
	s_mul_i32 s0, s16, s42
	s_mul_u64 s[42:43], s[24:25], s[42:43]
	s_wait_alu 0xfffe
	s_add_co_i32 s20, s40, s0
	s_mul_u64 s[42:43], s[42:43], 22
	s_wait_alu 0xfffe
	s_mul_u64 s[44:45], s[14:15], s[20:21]
	s_add_nc_u64 s[42:43], s[8:9], s[42:43]
	s_mul_u64 s[44:45], s[44:45], 22
	s_add_nc_u64 s[40:41], s[40:41], s[34:35]
	s_wait_alu 0xfffe
	s_add_nc_u64 s[42:43], s[42:43], s[44:45]
	v_cmp_ge_i64_e64 s0, s[40:41], s[2:3]
	s_wait_alu 0xfffe
	s_add_nc_u64 s[42:43], s[42:43], s[36:37]
	s_wait_alu 0xfffe
	v_mad_co_u64_u32 v[8:9], null, v0, 22, s[42:43]
	s_delay_alu instid0(VALU_DEP_1) | instskip(NEXT) | instid1(VALU_DEP_2)
	v_mad_co_u64_u32 v[10:11], null, v1, 22, v[9:10]
	v_add_co_u32 v11, vcc_lo, v8, v6
	s_delay_alu instid0(VALU_DEP_2)
	v_mov_b32_e32 v9, v10
	s_wait_alu 0xfffd
	v_add_co_ci_u32_e64 v12, null, 0, v10, vcc_lo
	s_and_b32 vcc_lo, exec_lo, s0
	s_clause 0x2
	global_load_b32 v10, v[8:9], off
	global_load_u16 v8, v[8:9], off offset:4
	global_load_u8 v9, v[11:12], off offset:6
	s_wait_loadcnt 0x1
	v_perm_b32 v8, v10, v8, 0x1000706
	s_wait_loadcnt 0x0
	v_lshrrev_b16 v11, 4, v9
	v_or_b32_e32 v9, -16, v9
	v_cvt_f32_f16_e32 v10, v10
	v_lshrrev_b32_e32 v12, v6, v8
	v_lshrrev_b32_e32 v8, v7, v8
	v_or_b32_e32 v11, -16, v11
	s_delay_alu instid0(VALU_DEP_3) | instskip(NEXT) | instid1(VALU_DEP_2)
	v_lshlrev_b32_e32 v12, 4, v12
	v_bfe_i32 v11, v11, 0, 16
	s_delay_alu instid0(VALU_DEP_2) | instskip(NEXT) | instid1(VALU_DEP_1)
	v_and_b32_e32 v12, 16, v12
	v_add_nc_u32_e32 v9, v9, v12
	s_delay_alu instid0(VALU_DEP_1) | instskip(NEXT) | instid1(VALU_DEP_1)
	v_cvt_f32_i32_e32 v9, v9
	v_dual_mul_f32 v9, v10, v9 :: v_dual_and_b32 v8, 16, v8
	s_delay_alu instid0(VALU_DEP_1) | instskip(NEXT) | instid1(VALU_DEP_1)
	v_add_nc_u32_e32 v8, v8, v11
	v_cvt_f32_i32_e32 v8, v8
	s_delay_alu instid0(VALU_DEP_1)
	v_mul_f32_e32 v8, v10, v8
	s_clause 0x1
	global_store_b32 v[4:5], v9, off offset:-64
	global_store_b32 v[4:5], v8, off
	v_add_co_u32 v4, s0, v4, s38
	s_wait_alu 0xf1ff
	v_add_co_ci_u32_e64 v5, null, s39, v5, s0
	s_wait_alu 0xfffe
	s_cbranch_vccz .LBB58_6
	s_branch .LBB58_3
.LBB58_7:
	s_endpgm
	.section	.rodata,"a",@progbits
	.p2align	6, 0x0
	.amdhsa_kernel _ZL16dequantize_blockILi32ELi2EXadL_ZL15dequantize_q5_0PKvliR15HIP_vector_typeIfLj2EEEEfEvS1_PT2_lllS2_IjLj3EElll
		.amdhsa_group_segment_fixed_size 0
		.amdhsa_private_segment_fixed_size 0
		.amdhsa_kernarg_size 336
		.amdhsa_user_sgpr_count 2
		.amdhsa_user_sgpr_dispatch_ptr 0
		.amdhsa_user_sgpr_queue_ptr 0
		.amdhsa_user_sgpr_kernarg_segment_ptr 1
		.amdhsa_user_sgpr_dispatch_id 0
		.amdhsa_user_sgpr_private_segment_size 0
		.amdhsa_wavefront_size32 1
		.amdhsa_uses_dynamic_stack 0
		.amdhsa_enable_private_segment 0
		.amdhsa_system_sgpr_workgroup_id_x 1
		.amdhsa_system_sgpr_workgroup_id_y 1
		.amdhsa_system_sgpr_workgroup_id_z 1
		.amdhsa_system_sgpr_workgroup_info 0
		.amdhsa_system_vgpr_workitem_id 0
		.amdhsa_next_free_vgpr 13
		.amdhsa_next_free_sgpr 46
		.amdhsa_reserve_vcc 1
		.amdhsa_float_round_mode_32 0
		.amdhsa_float_round_mode_16_64 0
		.amdhsa_float_denorm_mode_32 3
		.amdhsa_float_denorm_mode_16_64 3
		.amdhsa_fp16_overflow 0
		.amdhsa_workgroup_processor_mode 1
		.amdhsa_memory_ordered 1
		.amdhsa_forward_progress 1
		.amdhsa_inst_pref_size 7
		.amdhsa_round_robin_scheduling 0
		.amdhsa_exception_fp_ieee_invalid_op 0
		.amdhsa_exception_fp_denorm_src 0
		.amdhsa_exception_fp_ieee_div_zero 0
		.amdhsa_exception_fp_ieee_overflow 0
		.amdhsa_exception_fp_ieee_underflow 0
		.amdhsa_exception_fp_ieee_inexact 0
		.amdhsa_exception_int_div_zero 0
	.end_amdhsa_kernel
	.section	.text._ZL16dequantize_blockILi32ELi2EXadL_ZL15dequantize_q5_0PKvliR15HIP_vector_typeIfLj2EEEEfEvS1_PT2_lllS2_IjLj3EElll,"axG",@progbits,_ZL16dequantize_blockILi32ELi2EXadL_ZL15dequantize_q5_0PKvliR15HIP_vector_typeIfLj2EEEEfEvS1_PT2_lllS2_IjLj3EElll,comdat
.Lfunc_end58:
	.size	_ZL16dequantize_blockILi32ELi2EXadL_ZL15dequantize_q5_0PKvliR15HIP_vector_typeIfLj2EEEEfEvS1_PT2_lllS2_IjLj3EElll, .Lfunc_end58-_ZL16dequantize_blockILi32ELi2EXadL_ZL15dequantize_q5_0PKvliR15HIP_vector_typeIfLj2EEEEfEvS1_PT2_lllS2_IjLj3EElll
                                        ; -- End function
	.set _ZL16dequantize_blockILi32ELi2EXadL_ZL15dequantize_q5_0PKvliR15HIP_vector_typeIfLj2EEEEfEvS1_PT2_lllS2_IjLj3EElll.num_vgpr, 13
	.set _ZL16dequantize_blockILi32ELi2EXadL_ZL15dequantize_q5_0PKvliR15HIP_vector_typeIfLj2EEEEfEvS1_PT2_lllS2_IjLj3EElll.num_agpr, 0
	.set _ZL16dequantize_blockILi32ELi2EXadL_ZL15dequantize_q5_0PKvliR15HIP_vector_typeIfLj2EEEEfEvS1_PT2_lllS2_IjLj3EElll.numbered_sgpr, 46
	.set _ZL16dequantize_blockILi32ELi2EXadL_ZL15dequantize_q5_0PKvliR15HIP_vector_typeIfLj2EEEEfEvS1_PT2_lllS2_IjLj3EElll.num_named_barrier, 0
	.set _ZL16dequantize_blockILi32ELi2EXadL_ZL15dequantize_q5_0PKvliR15HIP_vector_typeIfLj2EEEEfEvS1_PT2_lllS2_IjLj3EElll.private_seg_size, 0
	.set _ZL16dequantize_blockILi32ELi2EXadL_ZL15dequantize_q5_0PKvliR15HIP_vector_typeIfLj2EEEEfEvS1_PT2_lllS2_IjLj3EElll.uses_vcc, 1
	.set _ZL16dequantize_blockILi32ELi2EXadL_ZL15dequantize_q5_0PKvliR15HIP_vector_typeIfLj2EEEEfEvS1_PT2_lllS2_IjLj3EElll.uses_flat_scratch, 0
	.set _ZL16dequantize_blockILi32ELi2EXadL_ZL15dequantize_q5_0PKvliR15HIP_vector_typeIfLj2EEEEfEvS1_PT2_lllS2_IjLj3EElll.has_dyn_sized_stack, 0
	.set _ZL16dequantize_blockILi32ELi2EXadL_ZL15dequantize_q5_0PKvliR15HIP_vector_typeIfLj2EEEEfEvS1_PT2_lllS2_IjLj3EElll.has_recursion, 0
	.set _ZL16dequantize_blockILi32ELi2EXadL_ZL15dequantize_q5_0PKvliR15HIP_vector_typeIfLj2EEEEfEvS1_PT2_lllS2_IjLj3EElll.has_indirect_call, 0
	.section	.AMDGPU.csdata,"",@progbits
; Kernel info:
; codeLenInByte = 844
; TotalNumSgprs: 48
; NumVgprs: 13
; ScratchSize: 0
; MemoryBound: 0
; FloatMode: 240
; IeeeMode: 1
; LDSByteSize: 0 bytes/workgroup (compile time only)
; SGPRBlocks: 0
; VGPRBlocks: 1
; NumSGPRsForWavesPerEU: 48
; NumVGPRsForWavesPerEU: 13
; Occupancy: 16
; WaveLimiterHint : 0
; COMPUTE_PGM_RSRC2:SCRATCH_EN: 0
; COMPUTE_PGM_RSRC2:USER_SGPR: 2
; COMPUTE_PGM_RSRC2:TRAP_HANDLER: 0
; COMPUTE_PGM_RSRC2:TGID_X_EN: 1
; COMPUTE_PGM_RSRC2:TGID_Y_EN: 1
; COMPUTE_PGM_RSRC2:TGID_Z_EN: 1
; COMPUTE_PGM_RSRC2:TIDIG_COMP_CNT: 0
	.section	.text._ZL16dequantize_blockILi32ELi2EXadL_ZL15dequantize_q5_1PKvliR15HIP_vector_typeIfLj2EEEEfEvS1_PT2_lllS2_IjLj3EElll,"axG",@progbits,_ZL16dequantize_blockILi32ELi2EXadL_ZL15dequantize_q5_1PKvliR15HIP_vector_typeIfLj2EEEEfEvS1_PT2_lllS2_IjLj3EElll,comdat
	.globl	_ZL16dequantize_blockILi32ELi2EXadL_ZL15dequantize_q5_1PKvliR15HIP_vector_typeIfLj2EEEEfEvS1_PT2_lllS2_IjLj3EElll ; -- Begin function _ZL16dequantize_blockILi32ELi2EXadL_ZL15dequantize_q5_1PKvliR15HIP_vector_typeIfLj2EEEEfEvS1_PT2_lllS2_IjLj3EElll
	.p2align	8
	.type	_ZL16dequantize_blockILi32ELi2EXadL_ZL15dequantize_q5_1PKvliR15HIP_vector_typeIfLj2EEEEfEvS1_PT2_lllS2_IjLj3EElll,@function
_ZL16dequantize_blockILi32ELi2EXadL_ZL15dequantize_q5_1PKvliR15HIP_vector_typeIfLj2EEEEfEvS1_PT2_lllS2_IjLj3EElll: ; @_ZL16dequantize_blockILi32ELi2EXadL_ZL15dequantize_q5_1PKvliR15HIP_vector_typeIfLj2EEEEfEvS1_PT2_lllS2_IjLj3EElll
; %bb.0:
	s_clause 0x1
	s_load_b32 s2, s[0:1], 0x5c
	s_load_b128 s[4:7], s[0:1], 0x10
	v_mov_b32_e32 v1, 0
	s_wait_kmcnt 0x0
	s_and_b32 s2, s2, 0xffff
	s_delay_alu instid0(VALU_DEP_1) | instid1(SALU_CYCLE_1)
	v_mad_co_u64_u32 v[2:3], null, s2, ttmp9, v[0:1]
	s_mov_b32 s2, exec_lo
	v_lshlrev_b64_e32 v[0:1], 1, v[2:3]
	s_delay_alu instid0(VALU_DEP_1)
	v_cmpx_gt_i64_e64 s[4:5], v[0:1]
	s_cbranch_execz .LBB59_7
; %bb.1:
	s_load_b64 s[2:3], s[0:1], 0x20
	s_mov_b32 s21, 0
	s_and_b32 s20, ttmp7, 0xffff
	s_delay_alu instid0(SALU_CYCLE_1)
	v_cmp_le_i64_e64 s8, s[6:7], s[20:21]
	s_and_b32 vcc_lo, exec_lo, s8
	s_cbranch_vccnz .LBB59_7
; %bb.2:
	v_lshrrev_b64 v[0:1], 4, v[2:3]
	s_clause 0x1
	s_load_b96 s[16:18], s[0:1], 0x28
	s_load_b128 s[8:11], s[0:1], 0x0
	s_lshr_b32 s26, ttmp7, 16
	s_mov_b32 s27, s21
	s_add_nc_u64 s[22:23], s[0:1], 0x50
	s_clause 0x1
	s_load_b128 s[12:15], s[0:1], 0x38
	s_load_b64 s[24:25], s[0:1], 0x48
	s_mul_u64 s[0:1], s[6:7], s[26:27]
	v_and_b32_e32 v6, 15, v2
	s_load_b32 s30, s[22:23], 0x4
	s_add_nc_u64 s[0:1], s[0:1], s[20:21]
	v_lshlrev_b64_e32 v[2:3], 7, v[0:1]
	s_wait_alu 0xfffe
	s_mul_u64 s[0:1], s[4:5], s[0:1]
	v_lshlrev_b32_e32 v4, 2, v6
	s_wait_alu 0xfffe
	s_lshl_b64 s[0:1], s[0:1], 2
	s_mov_b32 s31, s21
	v_add_nc_u32_e32 v7, 12, v6
	s_wait_alu 0xfffe
	v_add_co_u32 v2, vcc_lo, s0, v2
	s_delay_alu instid0(VALU_DEP_1)
	v_add_co_ci_u32_e64 v3, null, s1, v3, vcc_lo
	s_mov_b32 s29, s21
	v_add_co_u32 v2, vcc_lo, v2, v4
	s_wait_alu 0xfffd
	v_add_co_ci_u32_e64 v3, null, 0, v3, vcc_lo
	s_wait_kmcnt 0x0
	s_mov_b32 s28, s16
	v_add_co_u32 v2, vcc_lo, s10, v2
	s_wait_alu 0xfffd
	v_add_co_ci_u32_e64 v3, null, s11, v3, vcc_lo
	s_mul_u64 s[0:1], s[4:5], s[30:31]
	v_add_co_u32 v2, vcc_lo, v2, 64
	s_wait_alu 0xfffe
	s_lshl_b64 s[10:11], s[0:1], 2
	v_cmp_gt_i64_e64 s1, s[2:3], s[26:27]
	s_wait_alu 0xfffd
	v_add_co_ci_u32_e64 v3, null, 0, v3, vcc_lo
	s_mul_u64 s[4:5], s[6:7], s[4:5]
	s_sub_co_i32 s16, 0, s18
	s_wait_alu 0xfffe
	s_lshl_b64 s[4:5], s[4:5], 2
	s_mov_b64 s[18:19], s[20:21]
	s_branch .LBB59_4
.LBB59_3:                               ;   in Loop: Header=BB59_4 Depth=1
	s_add_nc_u64 s[18:19], s[18:19], s[30:31]
	v_add_co_u32 v2, vcc_lo, v2, s10
	s_wait_alu 0xfffe
	v_cmp_ge_i64_e64 s0, s[18:19], s[6:7]
	s_wait_alu 0xfffd
	v_add_co_ci_u32_e64 v3, null, s11, v3, vcc_lo
	s_and_b32 vcc_lo, exec_lo, s0
	s_wait_alu 0xfffe
	s_cbranch_vccnz .LBB59_7
.LBB59_4:                               ; =>This Loop Header: Depth=1
                                        ;     Child Loop BB59_6 Depth 2
	s_and_not1_b32 vcc_lo, exec_lo, s1
	s_wait_alu 0xfffe
	s_cbranch_vccnz .LBB59_3
; %bb.5:                                ;   in Loop: Header=BB59_4 Depth=1
	s_load_b32 s34, s[22:23], 0x8
	v_dual_mov_b32 v5, v3 :: v_dual_mov_b32 v4, v2
	s_mul_u64 s[36:37], s[18:19], s[12:13]
	s_mov_b32 s35, s21
	s_mul_u64 s[36:37], s[36:37], 24
	s_mov_b64 s[40:41], s[26:27]
	s_wait_kmcnt 0x0
	s_mul_u64 s[38:39], s[4:5], s[34:35]
.LBB59_6:                               ;   Parent Loop BB59_4 Depth=1
                                        ; =>  This Inner Loop Header: Depth=2
	s_wait_alu 0xfffe
	s_mov_b32 s20, s40
	s_mov_b32 s43, s21
	s_wait_alu 0xfffe
	s_mul_u64 s[44:45], s[28:29], s[20:21]
	s_delay_alu instid0(SALU_CYCLE_1)
	s_add_co_i32 s0, s40, s45
	s_wait_alu 0xfffe
	s_lshr_b32 s42, s0, s17
	s_wait_alu 0xfffe
	s_mul_i32 s0, s16, s42
	s_mul_u64 s[42:43], s[24:25], s[42:43]
	s_wait_alu 0xfffe
	s_add_co_i32 s20, s40, s0
	s_mul_u64 s[42:43], s[42:43], 24
	s_wait_alu 0xfffe
	s_mul_u64 s[44:45], s[14:15], s[20:21]
	s_add_nc_u64 s[42:43], s[8:9], s[42:43]
	s_mul_u64 s[44:45], s[44:45], 24
	s_add_nc_u64 s[40:41], s[40:41], s[34:35]
	s_wait_alu 0xfffe
	s_add_nc_u64 s[42:43], s[42:43], s[44:45]
	v_cmp_ge_i64_e64 s0, s[40:41], s[2:3]
	s_wait_alu 0xfffe
	s_add_nc_u64 s[42:43], s[42:43], s[36:37]
	s_wait_alu 0xfffe
	v_mad_co_u64_u32 v[8:9], null, v0, 24, s[42:43]
	s_delay_alu instid0(VALU_DEP_1) | instskip(NEXT) | instid1(VALU_DEP_2)
	v_mad_co_u64_u32 v[10:11], null, v1, 24, v[9:10]
	v_add_co_u32 v11, vcc_lo, v8, v6
	s_delay_alu instid0(VALU_DEP_2)
	v_mov_b32_e32 v9, v10
	s_wait_alu 0xfffd
	v_add_co_ci_u32_e64 v12, null, 0, v10, vcc_lo
	s_and_b32 vcc_lo, exec_lo, s0
	s_clause 0x1
	global_load_b64 v[8:9], v[8:9], off
	global_load_u8 v10, v[11:12], off offset:8
	s_wait_loadcnt 0x1
	v_lshrrev_b32_e32 v11, v6, v9
	v_lshrrev_b32_e32 v9, v7, v9
	s_wait_loadcnt 0x0
	v_and_b32_e32 v12, 15, v10
	v_lshrrev_b16 v10, 4, v10
	v_lshlrev_b32_e32 v11, 4, v11
	s_delay_alu instid0(VALU_DEP_2) | instskip(NEXT) | instid1(VALU_DEP_2)
	v_and_or_b32 v9, v9, 16, v10
	v_and_or_b32 v10, v11, 16, v12
	s_delay_alu instid0(VALU_DEP_2) | instskip(NEXT) | instid1(VALU_DEP_2)
	v_cvt_f32_ubyte0_e32 v9, v9
	v_cvt_f32_ubyte0_e32 v10, v10
	s_delay_alu instid0(VALU_DEP_2) | instskip(NEXT) | instid1(VALU_DEP_2)
	v_fma_mix_f32 v9, v8, v9, v8 op_sel:[0,0,1] op_sel_hi:[1,0,1]
	v_fma_mix_f32 v8, v8, v10, v8 op_sel:[0,0,1] op_sel_hi:[1,0,1]
	s_clause 0x1
	global_store_b32 v[4:5], v8, off offset:-64
	global_store_b32 v[4:5], v9, off
	v_add_co_u32 v4, s0, v4, s38
	s_wait_alu 0xf1ff
	v_add_co_ci_u32_e64 v5, null, s39, v5, s0
	s_wait_alu 0xfffe
	s_cbranch_vccz .LBB59_6
	s_branch .LBB59_3
.LBB59_7:
	s_endpgm
	.section	.rodata,"a",@progbits
	.p2align	6, 0x0
	.amdhsa_kernel _ZL16dequantize_blockILi32ELi2EXadL_ZL15dequantize_q5_1PKvliR15HIP_vector_typeIfLj2EEEEfEvS1_PT2_lllS2_IjLj3EElll
		.amdhsa_group_segment_fixed_size 0
		.amdhsa_private_segment_fixed_size 0
		.amdhsa_kernarg_size 336
		.amdhsa_user_sgpr_count 2
		.amdhsa_user_sgpr_dispatch_ptr 0
		.amdhsa_user_sgpr_queue_ptr 0
		.amdhsa_user_sgpr_kernarg_segment_ptr 1
		.amdhsa_user_sgpr_dispatch_id 0
		.amdhsa_user_sgpr_private_segment_size 0
		.amdhsa_wavefront_size32 1
		.amdhsa_uses_dynamic_stack 0
		.amdhsa_enable_private_segment 0
		.amdhsa_system_sgpr_workgroup_id_x 1
		.amdhsa_system_sgpr_workgroup_id_y 1
		.amdhsa_system_sgpr_workgroup_id_z 1
		.amdhsa_system_sgpr_workgroup_info 0
		.amdhsa_system_vgpr_workitem_id 0
		.amdhsa_next_free_vgpr 13
		.amdhsa_next_free_sgpr 46
		.amdhsa_reserve_vcc 1
		.amdhsa_float_round_mode_32 0
		.amdhsa_float_round_mode_16_64 0
		.amdhsa_float_denorm_mode_32 3
		.amdhsa_float_denorm_mode_16_64 3
		.amdhsa_fp16_overflow 0
		.amdhsa_workgroup_processor_mode 1
		.amdhsa_memory_ordered 1
		.amdhsa_forward_progress 1
		.amdhsa_inst_pref_size 7
		.amdhsa_round_robin_scheduling 0
		.amdhsa_exception_fp_ieee_invalid_op 0
		.amdhsa_exception_fp_denorm_src 0
		.amdhsa_exception_fp_ieee_div_zero 0
		.amdhsa_exception_fp_ieee_overflow 0
		.amdhsa_exception_fp_ieee_underflow 0
		.amdhsa_exception_fp_ieee_inexact 0
		.amdhsa_exception_int_div_zero 0
	.end_amdhsa_kernel
	.section	.text._ZL16dequantize_blockILi32ELi2EXadL_ZL15dequantize_q5_1PKvliR15HIP_vector_typeIfLj2EEEEfEvS1_PT2_lllS2_IjLj3EElll,"axG",@progbits,_ZL16dequantize_blockILi32ELi2EXadL_ZL15dequantize_q5_1PKvliR15HIP_vector_typeIfLj2EEEEfEvS1_PT2_lllS2_IjLj3EElll,comdat
.Lfunc_end59:
	.size	_ZL16dequantize_blockILi32ELi2EXadL_ZL15dequantize_q5_1PKvliR15HIP_vector_typeIfLj2EEEEfEvS1_PT2_lllS2_IjLj3EElll, .Lfunc_end59-_ZL16dequantize_blockILi32ELi2EXadL_ZL15dequantize_q5_1PKvliR15HIP_vector_typeIfLj2EEEEfEvS1_PT2_lllS2_IjLj3EElll
                                        ; -- End function
	.set _ZL16dequantize_blockILi32ELi2EXadL_ZL15dequantize_q5_1PKvliR15HIP_vector_typeIfLj2EEEEfEvS1_PT2_lllS2_IjLj3EElll.num_vgpr, 13
	.set _ZL16dequantize_blockILi32ELi2EXadL_ZL15dequantize_q5_1PKvliR15HIP_vector_typeIfLj2EEEEfEvS1_PT2_lllS2_IjLj3EElll.num_agpr, 0
	.set _ZL16dequantize_blockILi32ELi2EXadL_ZL15dequantize_q5_1PKvliR15HIP_vector_typeIfLj2EEEEfEvS1_PT2_lllS2_IjLj3EElll.numbered_sgpr, 46
	.set _ZL16dequantize_blockILi32ELi2EXadL_ZL15dequantize_q5_1PKvliR15HIP_vector_typeIfLj2EEEEfEvS1_PT2_lllS2_IjLj3EElll.num_named_barrier, 0
	.set _ZL16dequantize_blockILi32ELi2EXadL_ZL15dequantize_q5_1PKvliR15HIP_vector_typeIfLj2EEEEfEvS1_PT2_lllS2_IjLj3EElll.private_seg_size, 0
	.set _ZL16dequantize_blockILi32ELi2EXadL_ZL15dequantize_q5_1PKvliR15HIP_vector_typeIfLj2EEEEfEvS1_PT2_lllS2_IjLj3EElll.uses_vcc, 1
	.set _ZL16dequantize_blockILi32ELi2EXadL_ZL15dequantize_q5_1PKvliR15HIP_vector_typeIfLj2EEEEfEvS1_PT2_lllS2_IjLj3EElll.uses_flat_scratch, 0
	.set _ZL16dequantize_blockILi32ELi2EXadL_ZL15dequantize_q5_1PKvliR15HIP_vector_typeIfLj2EEEEfEvS1_PT2_lllS2_IjLj3EElll.has_dyn_sized_stack, 0
	.set _ZL16dequantize_blockILi32ELi2EXadL_ZL15dequantize_q5_1PKvliR15HIP_vector_typeIfLj2EEEEfEvS1_PT2_lllS2_IjLj3EElll.has_recursion, 0
	.set _ZL16dequantize_blockILi32ELi2EXadL_ZL15dequantize_q5_1PKvliR15HIP_vector_typeIfLj2EEEEfEvS1_PT2_lllS2_IjLj3EElll.has_indirect_call, 0
	.section	.AMDGPU.csdata,"",@progbits
; Kernel info:
; codeLenInByte = 804
; TotalNumSgprs: 48
; NumVgprs: 13
; ScratchSize: 0
; MemoryBound: 0
; FloatMode: 240
; IeeeMode: 1
; LDSByteSize: 0 bytes/workgroup (compile time only)
; SGPRBlocks: 0
; VGPRBlocks: 1
; NumSGPRsForWavesPerEU: 48
; NumVGPRsForWavesPerEU: 13
; Occupancy: 16
; WaveLimiterHint : 0
; COMPUTE_PGM_RSRC2:SCRATCH_EN: 0
; COMPUTE_PGM_RSRC2:USER_SGPR: 2
; COMPUTE_PGM_RSRC2:TRAP_HANDLER: 0
; COMPUTE_PGM_RSRC2:TGID_X_EN: 1
; COMPUTE_PGM_RSRC2:TGID_Y_EN: 1
; COMPUTE_PGM_RSRC2:TGID_Z_EN: 1
; COMPUTE_PGM_RSRC2:TIDIG_COMP_CNT: 0
	.section	.text._ZL16dequantize_blockILi32ELi1EXadL_ZL15dequantize_q8_0PKvliR15HIP_vector_typeIfLj2EEEEfEvS1_PT2_lllS2_IjLj3EElll,"axG",@progbits,_ZL16dequantize_blockILi32ELi1EXadL_ZL15dequantize_q8_0PKvliR15HIP_vector_typeIfLj2EEEEfEvS1_PT2_lllS2_IjLj3EElll,comdat
	.globl	_ZL16dequantize_blockILi32ELi1EXadL_ZL15dequantize_q8_0PKvliR15HIP_vector_typeIfLj2EEEEfEvS1_PT2_lllS2_IjLj3EElll ; -- Begin function _ZL16dequantize_blockILi32ELi1EXadL_ZL15dequantize_q8_0PKvliR15HIP_vector_typeIfLj2EEEEfEvS1_PT2_lllS2_IjLj3EElll
	.p2align	8
	.type	_ZL16dequantize_blockILi32ELi1EXadL_ZL15dequantize_q8_0PKvliR15HIP_vector_typeIfLj2EEEEfEvS1_PT2_lllS2_IjLj3EElll,@function
_ZL16dequantize_blockILi32ELi1EXadL_ZL15dequantize_q8_0PKvliR15HIP_vector_typeIfLj2EEEEfEvS1_PT2_lllS2_IjLj3EElll: ; @_ZL16dequantize_blockILi32ELi1EXadL_ZL15dequantize_q8_0PKvliR15HIP_vector_typeIfLj2EEEEfEvS1_PT2_lllS2_IjLj3EElll
; %bb.0:
	s_clause 0x1
	s_load_b32 s19, s[0:1], 0x5c
	s_load_b128 s[4:7], s[0:1], 0x10
	v_mov_b32_e32 v1, 0
	s_wait_kmcnt 0x0
	s_and_b32 s2, s19, 0xffff
	s_delay_alu instid0(VALU_DEP_1) | instid1(SALU_CYCLE_1)
	v_mad_co_u64_u32 v[4:5], null, s2, ttmp9, v[0:1]
	s_mov_b32 s2, exec_lo
	v_lshlrev_b64_e32 v[2:3], 1, v[4:5]
	s_delay_alu instid0(VALU_DEP_1)
	v_cmpx_gt_i64_e64 s[4:5], v[2:3]
	s_cbranch_execz .LBB60_7
; %bb.1:
	s_load_b64 s[2:3], s[0:1], 0x20
	s_mov_b32 s21, 0
	s_and_b32 s20, ttmp7, 0xffff
	s_delay_alu instid0(SALU_CYCLE_1)
	v_cmp_le_i64_e64 s8, s[6:7], s[20:21]
	s_and_b32 vcc_lo, exec_lo, s8
	s_cbranch_vccnz .LBB60_7
; %bb.2:
	s_clause 0x1
	s_load_b96 s[16:18], s[0:1], 0x28
	s_load_b128 s[8:11], s[0:1], 0x0
	s_add_nc_u64 s[22:23], s[0:1], 0x50
	s_clause 0x1
	s_load_b128 s[12:15], s[0:1], 0x38
	s_load_b64 s[24:25], s[0:1], 0x48
	s_mul_i32 s0, ttmp9, s19
	s_wait_alu 0xfffe
	s_lshr_b32 s26, ttmp7, 16
	v_add_nc_u16 v3, s0, v0
	v_lshrrev_b64 v[0:1], 4, v[4:5]
	s_mov_b32 s27, s21
	s_load_b32 s28, s[22:23], 0x4
	s_mul_u64 s[0:1], s[6:7], s[26:27]
	v_and_b32_e32 v5, 15, v3
	s_wait_alu 0xfffe
	s_add_nc_u64 s[0:1], s[0:1], s[20:21]
	v_lshlrev_b64_e32 v[3:4], 7, v[0:1]
	s_wait_alu 0xfffe
	s_mul_u64 s[0:1], s[4:5], s[0:1]
	v_and_b32_e32 v6, 30, v2
	s_wait_alu 0xfffe
	s_lshl_b64 s[0:1], s[0:1], 2
	v_lshlrev_b32_e32 v5, 3, v5
	s_mov_b32 s29, s21
	s_wait_alu 0xfffe
	v_add_co_u32 v3, vcc_lo, s0, v3
	s_delay_alu instid0(VALU_DEP_1)
	v_add_co_ci_u32_e64 v4, null, s1, v4, vcc_lo
	s_mov_b32 s31, s21
	v_add_co_u32 v2, vcc_lo, v3, v5
	s_wait_alu 0xfffd
	v_add_co_ci_u32_e64 v3, null, 0, v4, vcc_lo
	s_wait_kmcnt 0x0
	s_mov_b32 s30, s16
	v_add_co_u32 v2, vcc_lo, s10, v2
	s_wait_alu 0xfffd
	v_add_co_ci_u32_e64 v3, null, s11, v3, vcc_lo
	s_mul_u64 s[0:1], s[4:5], s[28:29]
	v_add_co_u32 v2, vcc_lo, v2, 4
	s_wait_alu 0xfffe
	s_lshl_b64 s[10:11], s[0:1], 2
	v_cmp_gt_i64_e64 s1, s[2:3], s[26:27]
	s_wait_alu 0xfffd
	v_add_co_ci_u32_e64 v3, null, 0, v3, vcc_lo
	s_mul_u64 s[4:5], s[6:7], s[4:5]
	s_sub_co_i32 s16, 0, s18
	s_wait_alu 0xfffe
	s_lshl_b64 s[4:5], s[4:5], 2
	s_mov_b64 s[18:19], s[20:21]
	s_branch .LBB60_4
.LBB60_3:                               ;   in Loop: Header=BB60_4 Depth=1
	s_add_nc_u64 s[18:19], s[18:19], s[28:29]
	v_add_co_u32 v2, vcc_lo, v2, s10
	s_wait_alu 0xfffe
	v_cmp_ge_i64_e64 s0, s[18:19], s[6:7]
	s_wait_alu 0xfffd
	v_add_co_ci_u32_e64 v3, null, s11, v3, vcc_lo
	s_and_b32 vcc_lo, exec_lo, s0
	s_wait_alu 0xfffe
	s_cbranch_vccnz .LBB60_7
.LBB60_4:                               ; =>This Loop Header: Depth=1
                                        ;     Child Loop BB60_6 Depth 2
	s_and_not1_b32 vcc_lo, exec_lo, s1
	s_wait_alu 0xfffe
	s_cbranch_vccnz .LBB60_3
; %bb.5:                                ;   in Loop: Header=BB60_4 Depth=1
	s_load_b32 s34, s[22:23], 0x8
	v_dual_mov_b32 v5, v3 :: v_dual_mov_b32 v4, v2
	s_mul_u64 s[36:37], s[18:19], s[12:13]
	s_mov_b32 s35, s21
	s_mul_u64 s[36:37], s[36:37], 34
	s_mov_b64 s[40:41], s[26:27]
	s_wait_kmcnt 0x0
	s_mul_u64 s[38:39], s[4:5], s[34:35]
.LBB60_6:                               ;   Parent Loop BB60_4 Depth=1
                                        ; =>  This Inner Loop Header: Depth=2
	s_wait_alu 0xfffe
	s_mov_b32 s20, s40
	s_mov_b32 s43, s21
	s_wait_alu 0xfffe
	s_mul_u64 s[44:45], s[30:31], s[20:21]
	s_delay_alu instid0(SALU_CYCLE_1)
	s_add_co_i32 s0, s40, s45
	s_wait_alu 0xfffe
	s_lshr_b32 s42, s0, s17
	s_wait_alu 0xfffe
	s_mul_i32 s0, s16, s42
	s_mul_u64 s[42:43], s[24:25], s[42:43]
	s_wait_alu 0xfffe
	s_add_co_i32 s20, s40, s0
	s_mul_u64 s[42:43], s[42:43], 34
	s_wait_alu 0xfffe
	s_mul_u64 s[44:45], s[14:15], s[20:21]
	s_add_nc_u64 s[42:43], s[8:9], s[42:43]
	s_mul_u64 s[44:45], s[44:45], 34
	s_add_nc_u64 s[40:41], s[40:41], s[34:35]
	s_wait_alu 0xfffe
	s_add_nc_u64 s[42:43], s[42:43], s[44:45]
	v_cmp_ge_i64_e64 s0, s[40:41], s[2:3]
	s_wait_alu 0xfffe
	s_add_nc_u64 s[42:43], s[42:43], s[36:37]
	s_wait_alu 0xfffe
	v_mad_co_u64_u32 v[7:8], null, v0, 34, s[42:43]
	s_delay_alu instid0(VALU_DEP_1) | instskip(NEXT) | instid1(VALU_DEP_2)
	v_mad_co_u64_u32 v[8:9], null, v1, 34, v[8:9]
	v_add_co_u32 v9, vcc_lo, v7, v6
	s_wait_alu 0xfffd
	s_delay_alu instid0(VALU_DEP_2)
	v_add_co_ci_u32_e64 v10, null, 0, v8, vcc_lo
	s_and_b32 vcc_lo, exec_lo, s0
	s_clause 0x1
	global_load_u16 v9, v[9:10], off offset:2
	global_load_u16 v7, v[7:8], off
	s_wait_loadcnt 0x1
	v_bfe_i32 v8, v9, 0, 8
	v_ashrrev_i16 v9, 8, v9
	s_wait_loadcnt 0x0
	v_cvt_f32_f16_e32 v10, v7
	s_delay_alu instid0(VALU_DEP_3) | instskip(NEXT) | instid1(VALU_DEP_3)
	v_bfe_i32 v7, v8, 0, 16
	v_bfe_i32 v8, v9, 0, 16
	s_delay_alu instid0(VALU_DEP_2) | instskip(NEXT) | instid1(VALU_DEP_2)
	v_cvt_f32_i32_e32 v7, v7
	v_cvt_f32_i32_e32 v8, v8
	s_delay_alu instid0(VALU_DEP_2) | instskip(NEXT) | instid1(VALU_DEP_2)
	v_mul_f32_e32 v7, v10, v7
	v_mul_f32_e32 v8, v10, v8
	global_store_b64 v[4:5], v[7:8], off offset:-4
	v_add_co_u32 v4, s0, v4, s38
	s_wait_alu 0xf1ff
	v_add_co_ci_u32_e64 v5, null, s39, v5, s0
	s_wait_alu 0xfffe
	s_cbranch_vccz .LBB60_6
	s_branch .LBB60_3
.LBB60_7:
	s_endpgm
	.section	.rodata,"a",@progbits
	.p2align	6, 0x0
	.amdhsa_kernel _ZL16dequantize_blockILi32ELi1EXadL_ZL15dequantize_q8_0PKvliR15HIP_vector_typeIfLj2EEEEfEvS1_PT2_lllS2_IjLj3EElll
		.amdhsa_group_segment_fixed_size 0
		.amdhsa_private_segment_fixed_size 0
		.amdhsa_kernarg_size 336
		.amdhsa_user_sgpr_count 2
		.amdhsa_user_sgpr_dispatch_ptr 0
		.amdhsa_user_sgpr_queue_ptr 0
		.amdhsa_user_sgpr_kernarg_segment_ptr 1
		.amdhsa_user_sgpr_dispatch_id 0
		.amdhsa_user_sgpr_private_segment_size 0
		.amdhsa_wavefront_size32 1
		.amdhsa_uses_dynamic_stack 0
		.amdhsa_enable_private_segment 0
		.amdhsa_system_sgpr_workgroup_id_x 1
		.amdhsa_system_sgpr_workgroup_id_y 1
		.amdhsa_system_sgpr_workgroup_id_z 1
		.amdhsa_system_sgpr_workgroup_info 0
		.amdhsa_system_vgpr_workitem_id 0
		.amdhsa_next_free_vgpr 11
		.amdhsa_next_free_sgpr 46
		.amdhsa_reserve_vcc 1
		.amdhsa_float_round_mode_32 0
		.amdhsa_float_round_mode_16_64 0
		.amdhsa_float_denorm_mode_32 3
		.amdhsa_float_denorm_mode_16_64 3
		.amdhsa_fp16_overflow 0
		.amdhsa_workgroup_processor_mode 1
		.amdhsa_memory_ordered 1
		.amdhsa_forward_progress 1
		.amdhsa_inst_pref_size 7
		.amdhsa_round_robin_scheduling 0
		.amdhsa_exception_fp_ieee_invalid_op 0
		.amdhsa_exception_fp_denorm_src 0
		.amdhsa_exception_fp_ieee_div_zero 0
		.amdhsa_exception_fp_ieee_overflow 0
		.amdhsa_exception_fp_ieee_underflow 0
		.amdhsa_exception_fp_ieee_inexact 0
		.amdhsa_exception_int_div_zero 0
	.end_amdhsa_kernel
	.section	.text._ZL16dequantize_blockILi32ELi1EXadL_ZL15dequantize_q8_0PKvliR15HIP_vector_typeIfLj2EEEEfEvS1_PT2_lllS2_IjLj3EElll,"axG",@progbits,_ZL16dequantize_blockILi32ELi1EXadL_ZL15dequantize_q8_0PKvliR15HIP_vector_typeIfLj2EEEEfEvS1_PT2_lllS2_IjLj3EElll,comdat
.Lfunc_end60:
	.size	_ZL16dequantize_blockILi32ELi1EXadL_ZL15dequantize_q8_0PKvliR15HIP_vector_typeIfLj2EEEEfEvS1_PT2_lllS2_IjLj3EElll, .Lfunc_end60-_ZL16dequantize_blockILi32ELi1EXadL_ZL15dequantize_q8_0PKvliR15HIP_vector_typeIfLj2EEEEfEvS1_PT2_lllS2_IjLj3EElll
                                        ; -- End function
	.set _ZL16dequantize_blockILi32ELi1EXadL_ZL15dequantize_q8_0PKvliR15HIP_vector_typeIfLj2EEEEfEvS1_PT2_lllS2_IjLj3EElll.num_vgpr, 11
	.set _ZL16dequantize_blockILi32ELi1EXadL_ZL15dequantize_q8_0PKvliR15HIP_vector_typeIfLj2EEEEfEvS1_PT2_lllS2_IjLj3EElll.num_agpr, 0
	.set _ZL16dequantize_blockILi32ELi1EXadL_ZL15dequantize_q8_0PKvliR15HIP_vector_typeIfLj2EEEEfEvS1_PT2_lllS2_IjLj3EElll.numbered_sgpr, 46
	.set _ZL16dequantize_blockILi32ELi1EXadL_ZL15dequantize_q8_0PKvliR15HIP_vector_typeIfLj2EEEEfEvS1_PT2_lllS2_IjLj3EElll.num_named_barrier, 0
	.set _ZL16dequantize_blockILi32ELi1EXadL_ZL15dequantize_q8_0PKvliR15HIP_vector_typeIfLj2EEEEfEvS1_PT2_lllS2_IjLj3EElll.private_seg_size, 0
	.set _ZL16dequantize_blockILi32ELi1EXadL_ZL15dequantize_q8_0PKvliR15HIP_vector_typeIfLj2EEEEfEvS1_PT2_lllS2_IjLj3EElll.uses_vcc, 1
	.set _ZL16dequantize_blockILi32ELi1EXadL_ZL15dequantize_q8_0PKvliR15HIP_vector_typeIfLj2EEEEfEvS1_PT2_lllS2_IjLj3EElll.uses_flat_scratch, 0
	.set _ZL16dequantize_blockILi32ELi1EXadL_ZL15dequantize_q8_0PKvliR15HIP_vector_typeIfLj2EEEEfEvS1_PT2_lllS2_IjLj3EElll.has_dyn_sized_stack, 0
	.set _ZL16dequantize_blockILi32ELi1EXadL_ZL15dequantize_q8_0PKvliR15HIP_vector_typeIfLj2EEEEfEvS1_PT2_lllS2_IjLj3EElll.has_recursion, 0
	.set _ZL16dequantize_blockILi32ELi1EXadL_ZL15dequantize_q8_0PKvliR15HIP_vector_typeIfLj2EEEEfEvS1_PT2_lllS2_IjLj3EElll.has_indirect_call, 0
	.section	.AMDGPU.csdata,"",@progbits
; Kernel info:
; codeLenInByte = 792
; TotalNumSgprs: 48
; NumVgprs: 11
; ScratchSize: 0
; MemoryBound: 0
; FloatMode: 240
; IeeeMode: 1
; LDSByteSize: 0 bytes/workgroup (compile time only)
; SGPRBlocks: 0
; VGPRBlocks: 1
; NumSGPRsForWavesPerEU: 48
; NumVGPRsForWavesPerEU: 11
; Occupancy: 16
; WaveLimiterHint : 0
; COMPUTE_PGM_RSRC2:SCRATCH_EN: 0
; COMPUTE_PGM_RSRC2:USER_SGPR: 2
; COMPUTE_PGM_RSRC2:TRAP_HANDLER: 0
; COMPUTE_PGM_RSRC2:TGID_X_EN: 1
; COMPUTE_PGM_RSRC2:TGID_Y_EN: 1
; COMPUTE_PGM_RSRC2:TGID_Z_EN: 1
; COMPUTE_PGM_RSRC2:TIDIG_COMP_CNT: 0
	.section	.text._ZL13convert_unaryI14__hip_bfloat16fEvPKvPT0_lll15HIP_vector_typeIjLj3EElll,"axG",@progbits,_ZL13convert_unaryI14__hip_bfloat16fEvPKvPT0_lll15HIP_vector_typeIjLj3EElll,comdat
	.globl	_ZL13convert_unaryI14__hip_bfloat16fEvPKvPT0_lll15HIP_vector_typeIjLj3EElll ; -- Begin function _ZL13convert_unaryI14__hip_bfloat16fEvPKvPT0_lll15HIP_vector_typeIjLj3EElll
	.p2align	8
	.type	_ZL13convert_unaryI14__hip_bfloat16fEvPKvPT0_lll15HIP_vector_typeIjLj3EElll,@function
_ZL13convert_unaryI14__hip_bfloat16fEvPKvPT0_lll15HIP_vector_typeIjLj3EElll: ; @_ZL13convert_unaryI14__hip_bfloat16fEvPKvPT0_lll15HIP_vector_typeIjLj3EElll
; %bb.0:
	s_clause 0x1
	s_load_b32 s2, s[0:1], 0x5c
	s_load_b128 s[4:7], s[0:1], 0x10
	v_mov_b32_e32 v1, 0
	s_wait_kmcnt 0x0
	s_and_b32 s2, s2, 0xffff
	s_delay_alu instid0(VALU_DEP_1) | instid1(SALU_CYCLE_1)
	v_mad_co_u64_u32 v[0:1], null, s2, ttmp9, v[0:1]
	s_mov_b32 s2, exec_lo
	v_cmpx_gt_i64_e64 s[4:5], v[0:1]
	s_cbranch_execz .LBB61_7
; %bb.1:
	s_load_b64 s[2:3], s[0:1], 0x20
	s_mov_b32 s21, 0
	s_and_b32 s20, ttmp7, 0xffff
	s_delay_alu instid0(SALU_CYCLE_1)
	v_cmp_le_i64_e64 s8, s[6:7], s[20:21]
	s_and_b32 vcc_lo, exec_lo, s8
	s_cbranch_vccnz .LBB61_7
; %bb.2:
	s_add_nc_u64 s[22:23], s[0:1], 0x50
	s_clause 0x1
	s_load_b96 s[16:18], s[0:1], 0x28
	s_load_b128 s[8:11], s[0:1], 0x0
	s_load_b32 s24, s[22:23], 0x4
	s_clause 0x1
	s_load_b128 s[12:15], s[0:1], 0x38
	s_load_b64 s[26:27], s[0:1], 0x48
	s_lshr_b32 s28, ttmp7, 16
	s_mov_b32 s29, s21
	v_lshlrev_b64_e32 v[2:3], 2, v[0:1]
	s_mul_u64 s[0:1], s[6:7], s[28:29]
	s_mov_b32 s25, s21
	s_wait_alu 0xfffe
	s_add_nc_u64 s[0:1], s[0:1], s[20:21]
	v_lshlrev_b64_e32 v[0:1], 1, v[0:1]
	s_wait_alu 0xfffe
	s_mul_u64 s[0:1], s[4:5], s[0:1]
	s_mul_u64 s[34:35], s[6:7], s[4:5]
	s_wait_alu 0xfffe
	s_lshl_b64 s[0:1], s[0:1], 2
	s_mov_b32 s31, s21
	s_wait_kmcnt 0x0
	s_mov_b32 s30, s16
	s_wait_alu 0xfffe
	s_add_nc_u64 s[0:1], s[10:11], s[0:1]
	s_mul_u64 s[4:5], s[4:5], s[24:25]
	s_wait_alu 0xfffe
	v_add_co_u32 v2, vcc_lo, s0, v2
	s_delay_alu instid0(VALU_DEP_1)
	v_add_co_ci_u32_e64 v3, null, s1, v3, vcc_lo
	v_cmp_gt_i64_e64 s1, s[2:3], s[28:29]
	s_lshl_b64 s[4:5], s[4:5], 2
	s_lshl_b64 s[10:11], s[34:35], 2
	s_sub_co_i32 s16, 0, s18
	s_mov_b64 s[18:19], s[20:21]
	s_branch .LBB61_4
.LBB61_3:                               ;   in Loop: Header=BB61_4 Depth=1
	s_add_nc_u64 s[18:19], s[18:19], s[24:25]
	v_add_co_u32 v2, vcc_lo, v2, s4
	s_wait_alu 0xfffe
	v_cmp_ge_i64_e64 s0, s[18:19], s[6:7]
	s_wait_alu 0xfffd
	v_add_co_ci_u32_e64 v3, null, s5, v3, vcc_lo
	s_and_b32 vcc_lo, exec_lo, s0
	s_wait_alu 0xfffe
	s_cbranch_vccnz .LBB61_7
.LBB61_4:                               ; =>This Loop Header: Depth=1
                                        ;     Child Loop BB61_6 Depth 2
	s_and_not1_b32 vcc_lo, exec_lo, s1
	s_wait_alu 0xfffe
	s_cbranch_vccnz .LBB61_3
; %bb.5:                                ;   in Loop: Header=BB61_4 Depth=1
	s_load_b32 s34, s[22:23], 0x8
	v_dual_mov_b32 v5, v3 :: v_dual_mov_b32 v4, v2
	s_mul_u64 s[36:37], s[18:19], s[12:13]
	s_mov_b32 s35, s21
	s_lshl_b64 s[36:37], s[36:37], 1
	s_mov_b64 s[40:41], s[28:29]
	s_wait_kmcnt 0x0
	s_mul_u64 s[38:39], s[10:11], s[34:35]
.LBB61_6:                               ;   Parent Loop BB61_4 Depth=1
                                        ; =>  This Inner Loop Header: Depth=2
	s_wait_alu 0xfffe
	s_mov_b32 s20, s40
	s_mov_b32 s43, s21
	s_wait_alu 0xfffe
	s_mul_u64 s[44:45], s[30:31], s[20:21]
	s_delay_alu instid0(SALU_CYCLE_1)
	s_add_co_i32 s0, s40, s45
	s_wait_alu 0xfffe
	s_lshr_b32 s42, s0, s17
	s_wait_alu 0xfffe
	s_mul_i32 s0, s16, s42
	s_mul_u64 s[42:43], s[26:27], s[42:43]
	s_wait_alu 0xfffe
	s_add_co_i32 s20, s40, s0
	s_lshl_b64 s[42:43], s[42:43], 1
	s_wait_alu 0xfffe
	s_mul_u64 s[44:45], s[14:15], s[20:21]
	s_add_nc_u64 s[42:43], s[8:9], s[42:43]
	s_lshl_b64 s[44:45], s[44:45], 1
	s_add_nc_u64 s[40:41], s[40:41], s[34:35]
	s_wait_alu 0xfffe
	s_add_nc_u64 s[42:43], s[42:43], s[44:45]
	v_cmp_ge_i64_e64 s0, s[40:41], s[2:3]
	s_wait_alu 0xfffe
	s_add_nc_u64 s[42:43], s[42:43], s[36:37]
	s_wait_alu 0xfffe
	v_add_co_u32 v6, vcc_lo, s42, v0
	s_wait_alu 0xfffd
	v_add_co_ci_u32_e64 v7, null, s43, v1, vcc_lo
	s_and_b32 vcc_lo, exec_lo, s0
	global_load_u16 v6, v[6:7], off
	s_wait_loadcnt 0x0
	v_lshlrev_b32_e32 v6, 16, v6
	global_store_b32 v[4:5], v6, off
	v_add_co_u32 v4, s0, v4, s38
	s_wait_alu 0xf1ff
	v_add_co_ci_u32_e64 v5, null, s39, v5, s0
	s_wait_alu 0xfffe
	s_cbranch_vccz .LBB61_6
	s_branch .LBB61_3
.LBB61_7:
	s_endpgm
	.section	.rodata,"a",@progbits
	.p2align	6, 0x0
	.amdhsa_kernel _ZL13convert_unaryI14__hip_bfloat16fEvPKvPT0_lll15HIP_vector_typeIjLj3EElll
		.amdhsa_group_segment_fixed_size 0
		.amdhsa_private_segment_fixed_size 0
		.amdhsa_kernarg_size 336
		.amdhsa_user_sgpr_count 2
		.amdhsa_user_sgpr_dispatch_ptr 0
		.amdhsa_user_sgpr_queue_ptr 0
		.amdhsa_user_sgpr_kernarg_segment_ptr 1
		.amdhsa_user_sgpr_dispatch_id 0
		.amdhsa_user_sgpr_private_segment_size 0
		.amdhsa_wavefront_size32 1
		.amdhsa_uses_dynamic_stack 0
		.amdhsa_enable_private_segment 0
		.amdhsa_system_sgpr_workgroup_id_x 1
		.amdhsa_system_sgpr_workgroup_id_y 1
		.amdhsa_system_sgpr_workgroup_id_z 1
		.amdhsa_system_sgpr_workgroup_info 0
		.amdhsa_system_vgpr_workitem_id 0
		.amdhsa_next_free_vgpr 8
		.amdhsa_next_free_sgpr 46
		.amdhsa_reserve_vcc 1
		.amdhsa_float_round_mode_32 0
		.amdhsa_float_round_mode_16_64 0
		.amdhsa_float_denorm_mode_32 3
		.amdhsa_float_denorm_mode_16_64 3
		.amdhsa_fp16_overflow 0
		.amdhsa_workgroup_processor_mode 1
		.amdhsa_memory_ordered 1
		.amdhsa_forward_progress 1
		.amdhsa_inst_pref_size 5
		.amdhsa_round_robin_scheduling 0
		.amdhsa_exception_fp_ieee_invalid_op 0
		.amdhsa_exception_fp_denorm_src 0
		.amdhsa_exception_fp_ieee_div_zero 0
		.amdhsa_exception_fp_ieee_overflow 0
		.amdhsa_exception_fp_ieee_underflow 0
		.amdhsa_exception_fp_ieee_inexact 0
		.amdhsa_exception_int_div_zero 0
	.end_amdhsa_kernel
	.section	.text._ZL13convert_unaryI14__hip_bfloat16fEvPKvPT0_lll15HIP_vector_typeIjLj3EElll,"axG",@progbits,_ZL13convert_unaryI14__hip_bfloat16fEvPKvPT0_lll15HIP_vector_typeIjLj3EElll,comdat
.Lfunc_end61:
	.size	_ZL13convert_unaryI14__hip_bfloat16fEvPKvPT0_lll15HIP_vector_typeIjLj3EElll, .Lfunc_end61-_ZL13convert_unaryI14__hip_bfloat16fEvPKvPT0_lll15HIP_vector_typeIjLj3EElll
                                        ; -- End function
	.set _ZL13convert_unaryI14__hip_bfloat16fEvPKvPT0_lll15HIP_vector_typeIjLj3EElll.num_vgpr, 8
	.set _ZL13convert_unaryI14__hip_bfloat16fEvPKvPT0_lll15HIP_vector_typeIjLj3EElll.num_agpr, 0
	.set _ZL13convert_unaryI14__hip_bfloat16fEvPKvPT0_lll15HIP_vector_typeIjLj3EElll.numbered_sgpr, 46
	.set _ZL13convert_unaryI14__hip_bfloat16fEvPKvPT0_lll15HIP_vector_typeIjLj3EElll.num_named_barrier, 0
	.set _ZL13convert_unaryI14__hip_bfloat16fEvPKvPT0_lll15HIP_vector_typeIjLj3EElll.private_seg_size, 0
	.set _ZL13convert_unaryI14__hip_bfloat16fEvPKvPT0_lll15HIP_vector_typeIjLj3EElll.uses_vcc, 1
	.set _ZL13convert_unaryI14__hip_bfloat16fEvPKvPT0_lll15HIP_vector_typeIjLj3EElll.uses_flat_scratch, 0
	.set _ZL13convert_unaryI14__hip_bfloat16fEvPKvPT0_lll15HIP_vector_typeIjLj3EElll.has_dyn_sized_stack, 0
	.set _ZL13convert_unaryI14__hip_bfloat16fEvPKvPT0_lll15HIP_vector_typeIjLj3EElll.has_recursion, 0
	.set _ZL13convert_unaryI14__hip_bfloat16fEvPKvPT0_lll15HIP_vector_typeIjLj3EElll.has_indirect_call, 0
	.section	.AMDGPU.csdata,"",@progbits
; Kernel info:
; codeLenInByte = 588
; TotalNumSgprs: 48
; NumVgprs: 8
; ScratchSize: 0
; MemoryBound: 0
; FloatMode: 240
; IeeeMode: 1
; LDSByteSize: 0 bytes/workgroup (compile time only)
; SGPRBlocks: 0
; VGPRBlocks: 0
; NumSGPRsForWavesPerEU: 48
; NumVGPRsForWavesPerEU: 8
; Occupancy: 16
; WaveLimiterHint : 0
; COMPUTE_PGM_RSRC2:SCRATCH_EN: 0
; COMPUTE_PGM_RSRC2:USER_SGPR: 2
; COMPUTE_PGM_RSRC2:TRAP_HANDLER: 0
; COMPUTE_PGM_RSRC2:TGID_X_EN: 1
; COMPUTE_PGM_RSRC2:TGID_Y_EN: 1
; COMPUTE_PGM_RSRC2:TGID_Z_EN: 1
; COMPUTE_PGM_RSRC2:TIDIG_COMP_CNT: 0
	.section	.AMDGPU.gpr_maximums,"",@progbits
	.set amdgpu.max_num_vgpr, 0
	.set amdgpu.max_num_agpr, 0
	.set amdgpu.max_num_sgpr, 0
	.section	.AMDGPU.csdata,"",@progbits
	.type	_ZL11iq2xxs_grid,@object        ; @_ZL11iq2xxs_grid
	.section	.rodata,"a",@progbits
	.p2align	4, 0x0
_ZL11iq2xxs_grid:
	.quad	578721382704613384              ; 0x808080808080808
	.quad	578721382704613419              ; 0x80808080808082b
	;; [unrolled: 1-line block ×132, first 2 shown]
	.quad	1803700481349388313             ; 0x1908080808080819
	.quad	1803700481349392648             ; 0x1908080808081908
	;; [unrolled: 1-line block ×124, first 2 shown]
	.size	_ZL11iq2xxs_grid, 2048

	.type	_ZL12ksigns_iq2xs,@object       ; @_ZL12ksigns_iq2xs
	.p2align	4, 0x0
_ZL12ksigns_iq2xs:
	.ascii	"\000\201\202\003\204\005\006\207\210\t\n\213\f\215\216\017\220\021\022\223\024\225\226\027\030\231\232\033\234\035\036\237\240!\"\243$\245\246'(\251\252+\254-.\2570\261\2623\26456\267\2709:\273<\275\276?\300AB\303D\305\306GH\311\312K\314MN\317P\321\322S\324UV\327\330YZ\333\\\335\336_`\341\342c\344ef\347\350ij\353l\355\356o\360qr\363t\365\366wx\371\372{\374}~\377"
	.size	_ZL12ksigns_iq2xs, 128

	.type	_ZL10iq2xs_grid,@object         ; @_ZL10iq2xs_grid
	.p2align	4, 0x0
_ZL10iq2xs_grid:
	.quad	578721382704613384              ; 0x808080808080808
	.quad	578721382704613419              ; 0x80808080808082b
	;; [unrolled: 1-line block ×254, first 2 shown]
	.quad	1803700481349388313             ; 0x1908080808080819
	.quad	1803700481349392648             ; 0x1908080808081908
	;; [unrolled: 1-line block ×258, first 2 shown]
	.size	_ZL10iq2xs_grid, 4096

	.type	_ZL9iq2s_grid,@object           ; @_ZL9iq2s_grid
	.p2align	4, 0x0
_ZL9iq2s_grid:
	.quad	578721382704613384              ; 0x808080808080808
	.quad	578721382704613419              ; 0x80808080808082b
	;; [unrolled: 1-line block ×471, first 2 shown]
	.quad	1803700481349388313             ; 0x1908080808080819
	.quad	1803700481349392648             ; 0x1908080808081908
	;; [unrolled: 1-line block ×553, first 2 shown]
	.size	_ZL9iq2s_grid, 8192

	.type	_ZL11iq3xxs_grid,@object        ; @_ZL11iq3xxs_grid
	.p2align	4, 0x0
_ZL11iq3xxs_grid:
	.long	67372036                        ; 0x4040404
	.long	67372052                        ; 0x4040414
	;; [unrolled: 1-line block ×58, first 2 shown]
	.long	201589772                       ; 0xc04040c
	.long	201589788                       ; 0xc04041c
	;; [unrolled: 1-line block ×177, first 2 shown]
	.long	1040450588                      ; 0x3e04041c
	.long	1040450604                      ; 0x3e04042c
	;; [unrolled: 1-line block ×21, first 2 shown]
	.size	_ZL11iq3xxs_grid, 1024

	.type	_ZL13iq1s_grid_gpu,@object      ; @_ZL13iq1s_grid_gpu
	.p2align	4, 0x0
_ZL13iq1s_grid_gpu:
	.long	0                               ; 0x0
	.long	2                               ; 0x2
	.long	257                             ; 0x101
	.long	512                             ; 0x200
	;; [unrolled: 1-line block ×3, first 2 shown]
	.long	65537                           ; 0x10001
	.long	65793                           ; 0x10101
	.long	131072                          ; 0x20000
	.long	131074                          ; 0x20002
	;; [unrolled: 1-line block ×4, first 2 shown]
	.long	16777473                        ; 0x1000101
	.long	16842753                        ; 0x1010001
	;; [unrolled: 1-line block ×14, first 2 shown]
	.long	272                             ; 0x110
	.long	273                             ; 0x111
	.long	65553                           ; 0x10011
	.long	65808                           ; 0x10110
	.long	65810                           ; 0x10112
	.long	66065                           ; 0x10211
	.long	66066                           ; 0x10212
	.long	131345                          ; 0x20111
	.long	16777233                        ; 0x1000011
	.long	16777490                        ; 0x1000112
	.long	16777745                        ; 0x1000211
	.long	16842770                        ; 0x1010012
	.long	16843025                        ; 0x1010111
	.long	16843282                        ; 0x1010212
	.long	16908305                        ; 0x1020011
	.long	16908560                        ; 0x1020110
	.long	16908562                        ; 0x1020112
	.long	16908816                        ; 0x1020210
	.long	33554705                        ; 0x2000111
	.long	33619985                        ; 0x2010011
	.long	33620240                        ; 0x2010110
	.long	33620242                        ; 0x2010112
	.long	33685777                        ; 0x2020111
	.long	32                              ; 0x20
	.long	34                              ; 0x22
	.long	544                             ; 0x220
	.long	546                             ; 0x222
	.long	65825                           ; 0x10121
	.long	131104                          ; 0x20020
	.long	131106                          ; 0x20022
	;; [unrolled: 1-line block ×4, first 2 shown]
	.long	16777505                        ; 0x1000121
	.long	16842785                        ; 0x1010021
	.long	16843297                        ; 0x1010221
	.long	16908576                        ; 0x1020120
	.long	16908833                        ; 0x1020221
	.long	33554464                        ; 0x2000020
	.long	33554466                        ; 0x2000022
	.long	33554976                        ; 0x2000220
	.long	33554978                        ; 0x2000222
	.long	33620001                        ; 0x2010021
	.long	33620257                        ; 0x2010121
	.long	33620513                        ; 0x2010221
	.long	33685536                        ; 0x2020020
	.long	33685538                        ; 0x2020022
	.long	33686048                        ; 0x2020220
	.long	33686050                        ; 0x2020222
	.long	69633                           ; 0x11001
	.long	69888                           ; 0x11100
	;; [unrolled: 1-line block ×3, first 2 shown]
	.long	135425                          ; 0x21101
	.long	16781313                        ; 0x1001001
	.long	16781825                        ; 0x1001201
	;; [unrolled: 1-line block ×9, first 2 shown]
	.long	4113                            ; 0x1011
	.long	4368                            ; 0x1110
	;; [unrolled: 1-line block ×4, first 2 shown]
	.long	69905                           ; 0x11111
	.long	70160                           ; 0x11210
	;; [unrolled: 1-line block ×3, first 2 shown]
	.long	135697                          ; 0x21211
	.long	16781328                        ; 0x1001010
	.long	16781585                        ; 0x1001111
	;; [unrolled: 1-line block ×24, first 2 shown]
	.long	69920                           ; 0x11120
	.long	70177                           ; 0x11221
	.long	16781345                        ; 0x1001021
	.long	16781600                        ; 0x1001120
	;; [unrolled: 1-line block ×14, first 2 shown]
	.long	8192                            ; 0x2000
	.long	8194                            ; 0x2002
	;; [unrolled: 1-line block ×4, first 2 shown]
	.long	73985                           ; 0x12101
	.long	139264                          ; 0x22000
	.long	139266                          ; 0x22002
	;; [unrolled: 1-line block ×4, first 2 shown]
	.long	16785665                        ; 0x1002101
	.long	16850945                        ; 0x1012001
	;; [unrolled: 1-line block ×13, first 2 shown]
	.long	8465                            ; 0x2111
	.long	73745                           ; 0x12011
	.long	74000                           ; 0x12110
	;; [unrolled: 1-line block ×3, first 2 shown]
	.long	139536                          ; 0x22110
	.long	139537                          ; 0x22111
	.long	16785425                        ; 0x1002011
	.long	16850960                        ; 0x1012010
	;; [unrolled: 1-line block ×12, first 2 shown]
	.long	8224                            ; 0x2020
	.long	8226                            ; 0x2022
	;; [unrolled: 1-line block ×4, first 2 shown]
	.long	74017                           ; 0x12121
	.long	139296                          ; 0x22020
	.long	139298                          ; 0x22022
	;; [unrolled: 1-line block ×4, first 2 shown]
	.long	16785697                        ; 0x1002121
	.long	16850977                        ; 0x1012021
	;; [unrolled: 1-line block ×15, first 2 shown]
	.long	1114112                         ; 0x110000
	.long	1114113                         ; 0x110001
	.long	1114368                         ; 0x110100
	.long	1114625                         ; 0x110201
	.long	1179904                         ; 0x120100
	.long	1179905                         ; 0x120101
	.long	17825793                        ; 0x1100001
	.long	17826048                        ; 0x1100100
	;; [unrolled: 1-line block ×14, first 2 shown]
	.long	1048593                         ; 0x100011
	.long	1048848                         ; 0x100110
	;; [unrolled: 1-line block ×11, first 2 shown]
	.long	17826065                        ; 0x1100111
	.long	17826322                        ; 0x1100212
	;; [unrolled: 1-line block ×16, first 2 shown]
	.long	1114145                         ; 0x110021
	.long	1114400                         ; 0x110120
	;; [unrolled: 1-line block ×4, first 2 shown]
	.long	17825824                        ; 0x1100020
	.long	17826082                        ; 0x1100122
	;; [unrolled: 1-line block ×14, first 2 shown]
	.long	1052673                         ; 0x101001
	.long	1052930                         ; 0x101102
	;; [unrolled: 1-line block ×9, first 2 shown]
	.long	17829889                        ; 0x1101001
	.long	17830145                        ; 0x1101101
	;; [unrolled: 1-line block ×25, first 2 shown]
	.long	1052690                         ; 0x101012
	.long	1052945                         ; 0x101111
	;; [unrolled: 1-line block ×13, first 2 shown]
	.long	17829905                        ; 0x1101011
	.long	17830160                        ; 0x1101110
	;; [unrolled: 1-line block ×32, first 2 shown]
	.long	1052705                         ; 0x101021
	.long	1052960                         ; 0x101120
	;; [unrolled: 1-line block ×10, first 2 shown]
	.long	17829920                        ; 0x1101020
	.long	17829922                        ; 0x1101022
	;; [unrolled: 1-line block ×23, first 2 shown]
	.long	1122305                         ; 0x112001
	.long	1122562                         ; 0x112102
	;; [unrolled: 1-line block ×3, first 2 shown]
	.long	17833985                        ; 0x1102001
	.long	17834240                        ; 0x1102100
	;; [unrolled: 1-line block ×17, first 2 shown]
	.long	1122320                         ; 0x112010
	.long	1122322                         ; 0x112012
	;; [unrolled: 1-line block ×6, first 2 shown]
	.long	17834002                        ; 0x1102012
	.long	17834256                        ; 0x1102110
	;; [unrolled: 1-line block ×21, first 2 shown]
	.long	1057313                         ; 0x102221
	.long	1122594                         ; 0x112122
	;; [unrolled: 1-line block ×4, first 2 shown]
	.long	17834272                        ; 0x1102120
	.long	17834274                        ; 0x1102122
	;; [unrolled: 1-line block ×14, first 2 shown]
	.long	2097152                         ; 0x200000
	.long	2097154                         ; 0x200002
	.long	2097664                         ; 0x200200
	.long	2097666                         ; 0x200202
	.long	2162945                         ; 0x210101
	.long	2228224                         ; 0x220000
	.long	2228226                         ; 0x220002
	.long	2228481                         ; 0x220101
	.long	2228736                         ; 0x220200
	.long	2228738                         ; 0x220202
	.long	18874625                        ; 0x1200101
	.long	18939905                        ; 0x1210001
	;; [unrolled: 1-line block ×15, first 2 shown]
	.long	2097425                         ; 0x200111
	.long	2162705                         ; 0x210011
	;; [unrolled: 1-line block ×5, first 2 shown]
	.long	18874386                        ; 0x1200012
	.long	18874640                        ; 0x1200110
	;; [unrolled: 1-line block ×15, first 2 shown]
	.long	2097185                         ; 0x200021
	.long	2097696                         ; 0x200220
	;; [unrolled: 1-line block ×9, first 2 shown]
	.long	18874657                        ; 0x1200121
	.long	18939937                        ; 0x1210021
	;; [unrolled: 1-line block ×14, first 2 shown]
	.long	2101505                         ; 0x201101
	.long	2167040                         ; 0x211100
	;; [unrolled: 1-line block ×5, first 2 shown]
	.long	18878720                        ; 0x1201100
	.long	18878721                        ; 0x1201101
	;; [unrolled: 1-line block ×15, first 2 shown]
	.long	2101777                         ; 0x201211
	.long	2167057                         ; 0x211111
	;; [unrolled: 1-line block ×4, first 2 shown]
	.long	18878480                        ; 0x1201010
	.long	18878737                        ; 0x1201111
	;; [unrolled: 1-line block ×20, first 2 shown]
	.long	2101537                         ; 0x201121
	.long	2166816                         ; 0x211020
	;; [unrolled: 1-line block ×5, first 2 shown]
	.long	18878497                        ; 0x1201021
	.long	18879009                        ; 0x1201221
	.long	18944289                        ; 0x1211121
	.long	19009568                        ; 0x1221020
	.long	19009569                        ; 0x1221021
	.long	19010081                        ; 0x1221221
	.long	35655968                        ; 0x2201120
	.long	35655970                        ; 0x2201122
	.long	35721248                        ; 0x2211020
	.long	35721762                        ; 0x2211222
	.long	2105344                         ; 0x202000
	.long	2105346                         ; 0x202002
	;; [unrolled: 1-line block ×9, first 2 shown]
	.long	18882817                        ; 0x1202101
	.long	18948097                        ; 0x1212001
	;; [unrolled: 1-line block ×12, first 2 shown]
	.long	2105873                         ; 0x202211
	.long	2170897                         ; 0x212011
	;; [unrolled: 1-line block ×5, first 2 shown]
	.long	18882834                        ; 0x1202112
	.long	18883089                        ; 0x1202211
	.long	18948114                        ; 0x1212012
	.long	18948369                        ; 0x1212111
	.long	19013649                        ; 0x1222011
	.long	19013904                        ; 0x1222110
	.long	19013906                        ; 0x1222112
	.long	19014161                        ; 0x1222211
	.long	35660049                        ; 0x2202111
	.long	35725328                        ; 0x2212010
	.long	35725586                        ; 0x2212112
	.long	35725841                        ; 0x2212211
	.long	35791120                        ; 0x2222110
	.long	35791121                        ; 0x2222111
	.long	2105376                         ; 0x202020
	.long	2105378                         ; 0x202022
	;; [unrolled: 1-line block ×8, first 2 shown]
	.long	18882849                        ; 0x1202121
	.long	18948129                        ; 0x1212021
	.long	18948386                        ; 0x1212122
	.long	18948641                        ; 0x1212221
	.long	19013921                        ; 0x1222121
	.long	35659808                        ; 0x2202020
	.long	35659810                        ; 0x2202022
	.long	35660320                        ; 0x2202220
	.long	35660322                        ; 0x2202222
	.long	35725601                        ; 0x2212121
	.long	35790880                        ; 0x2222020
	.long	35790882                        ; 0x2222022
	.long	35791392                        ; 0x2222220
	.long	35791394                        ; 0x2222222
	.long	268435713                       ; 0x10000101
	.long	268500993                       ; 0x10010001
	;; [unrolled: 1-line block ×1419, first 2 shown]
	.size	_ZL13iq1s_grid_gpu, 8192

	.type	_ZL13kvalues_iq4nl,@object      ; @_ZL13kvalues_iq4nl
	.section	.rodata.cst16,"aM",@progbits,16
	.p2align	4, 0x0
_ZL13kvalues_iq4nl:
	.ascii	"\201\230\255\277\317\335\352\366\001\r\031&5EYq"
	.size	_ZL13kvalues_iq4nl, 16

	.type	_ZL9iq3s_grid,@object           ; @_ZL9iq3s_grid
	.section	.rodata,"a",@progbits
	.p2align	4, 0x0
_ZL9iq3s_grid:
	.long	16843009                        ; 0x1010101
	.long	16843011                        ; 0x1010103
	.long	16843013                        ; 0x1010105
	.long	16843019                        ; 0x101010b
	.long	16843023                        ; 0x101010f
	.long	16843521                        ; 0x1010301
	.long	16843523                        ; 0x1010303
	.long	16843525                        ; 0x1010305
	.long	16843529                        ; 0x1010309
	.long	16843533                        ; 0x101030d
	.long	16844033                        ; 0x1010501
	.long	16844035                        ; 0x1010503
	.long	16844043                        ; 0x101050b
	.long	16844551                        ; 0x1010707
	.long	16845057                        ; 0x1010901
	.long	16845061                        ; 0x1010905
	.long	16845067                        ; 0x101090b
	.long	16845071                        ; 0x101090f
	.long	16845571                        ; 0x1010b03
	.long	16845575                        ; 0x1010b07
	.long	16846081                        ; 0x1010d01
	.long	16846085                        ; 0x1010d05
	.long	16846595                        ; 0x1010f03
	.long	16846601                        ; 0x1010f09
	.long	16846607                        ; 0x1010f0f
	.long	16974081                        ; 0x1030101
	.long	16974083                        ; 0x1030103
	.long	16974085                        ; 0x1030105
	.long	16974089                        ; 0x1030109
	.long	16974593                        ; 0x1030301
	.long	16974595                        ; 0x1030303
	.long	16974603                        ; 0x103030b
	.long	16975105                        ; 0x1030501
	.long	16975111                        ; 0x1030507
	.long	16975119                        ; 0x103050f
	.long	16975619                        ; 0x1030703
	.long	16975627                        ; 0x103070b
	.long	16976137                        ; 0x1030909
	.long	16977155                        ; 0x1030d03
	.long	16977163                        ; 0x1030d0b
	.long	16977669                        ; 0x1030f05
	.long	17105153                        ; 0x1050101
	.long	17105155                        ; 0x1050103
	.long	17105163                        ; 0x105010b
	.long	17105167                        ; 0x105010f
	.long	17105665                        ; 0x1050301
	.long	17105671                        ; 0x1050307
	.long	17105677                        ; 0x105030d
	.long	17106179                        ; 0x1050503
	.long	17106187                        ; 0x105050b
	.long	17106689                        ; 0x1050701
	.long	17106697                        ; 0x1050709
	.long	17107205                        ; 0x1050905
	.long	17107211                        ; 0x105090b
	.long	17107215                        ; 0x105090f
	.long	17107715                        ; 0x1050b03
	.long	17107719                        ; 0x1050b07
	.long	17108737                        ; 0x1050f01
	.long	17108743                        ; 0x1050f07
	.long	17236231                        ; 0x1070107
	.long	17236739                        ; 0x1070303
	.long	17236747                        ; 0x107030b
	.long	17237249                        ; 0x1070501
	.long	17237253                        ; 0x1070505
	.long	17237763                        ; 0x1070703
	.long	17237767                        ; 0x1070707
	.long	17237773                        ; 0x107070d
	.long	17238281                        ; 0x1070909
	.long	17238785                        ; 0x1070b01
	.long	17238789                        ; 0x1070b05
	.long	17239311                        ; 0x1070d0f
	.long	17239811                        ; 0x1070f03
	.long	17239819                        ; 0x1070f0b
	.long	17367297                        ; 0x1090101
	.long	17367815                        ; 0x1090307
	.long	17367823                        ; 0x109030f
	.long	17368323                        ; 0x1090503
	.long	17368329                        ; 0x1090509
	.long	17368837                        ; 0x1090705
	.long	17369345                        ; 0x1090901
	.long	17369351                        ; 0x1090907
	.long	17369859                        ; 0x1090b03
	.long	17370881                        ; 0x1090f01
	.long	17498373                        ; 0x10b0105
	.long	17498377                        ; 0x10b0109
	.long	17499393                        ; 0x10b0501
	.long	17499397                        ; 0x10b0505
	.long	17499405                        ; 0x10b050d
	.long	17499911                        ; 0x10b0707
	.long	17500419                        ; 0x10b0903
	.long	17500427                        ; 0x10b090b
	.long	17500431                        ; 0x10b090f
	.long	17501453                        ; 0x10b0d0d
	.long	17501959                        ; 0x10b0f07
	.long	17629453                        ; 0x10d010d
	.long	17629955                        ; 0x10d0303
	.long	17629959                        ; 0x10d0307
	.long	17630979                        ; 0x10d0703
	.long	17632005                        ; 0x10d0b05
	.long	17633027                        ; 0x10d0f03
	.long	17760513                        ; 0x10f0101
	.long	17760517                        ; 0x10f0105
	.long	17760521                        ; 0x10f0109
	.long	17761537                        ; 0x10f0501
	.long	17761541                        ; 0x10f0505
	.long	17761549                        ; 0x10f050d
	.long	17762055                        ; 0x10f0707
	.long	17763073                        ; 0x10f0b01
	.long	17763081                        ; 0x10f0b09
	.long	50397441                        ; 0x3010101
	.long	50397443                        ; 0x3010103
	.long	50397445                        ; 0x3010105
	.long	50397449                        ; 0x3010109
	.long	50397953                        ; 0x3010301
	.long	50397955                        ; 0x3010303
	.long	50397959                        ; 0x3010307
	.long	50397963                        ; 0x301030b
	.long	50397967                        ; 0x301030f
	.long	50398465                        ; 0x3010501
	.long	50398469                        ; 0x3010505
	.long	50398979                        ; 0x3010703
	.long	50398985                        ; 0x3010709
	.long	50398989                        ; 0x301070d
	.long	50400009                        ; 0x3010b09
	.long	50400013                        ; 0x3010b0d
	.long	50400515                        ; 0x3010d03
	.long	50401029                        ; 0x3010f05
	.long	50528513                        ; 0x3030101
	.long	50528515                        ; 0x3030103
	.long	50528519                        ; 0x3030107
	.long	50528525                        ; 0x303010d
	.long	50529025                        ; 0x3030301
	.long	50529033                        ; 0x3030309
	.long	50529539                        ; 0x3030503
	.long	50530049                        ; 0x3030701
	.long	50530055                        ; 0x3030707
	.long	50530563                        ; 0x3030903
	.long	50531073                        ; 0x3030b01
	.long	50531077                        ; 0x3030b05
	.long	50532097                        ; 0x3030f01
	.long	50532109                        ; 0x3030f0d
	.long	50659585                        ; 0x3050101
	.long	50660101                        ; 0x3050305
	.long	50660107                        ; 0x305030b
	.long	50660111                        ; 0x305030f
	.long	50660609                        ; 0x3050501
	.long	50660617                        ; 0x3050509
	.long	50661125                        ; 0x3050705
	.long	50661633                        ; 0x3050901
	.long	50661639                        ; 0x3050907
	.long	50662155                        ; 0x3050b0b
	.long	50662657                        ; 0x3050d01
	.long	50663173                        ; 0x3050f05
	.long	50790659                        ; 0x3070103
	.long	50790665                        ; 0x3070109
	.long	50790671                        ; 0x307010f
	.long	50791169                        ; 0x3070301
	.long	50791175                        ; 0x3070307
	.long	50791683                        ; 0x3070503
	.long	50791695                        ; 0x307050f
	.long	50792193                        ; 0x3070701
	.long	50792201                        ; 0x3070709
	.long	50792707                        ; 0x3070903
	.long	50793733                        ; 0x3070d05
	.long	50794241                        ; 0x3070f01
	.long	50921735                        ; 0x3090107
	.long	50921739                        ; 0x309010b
	.long	50922245                        ; 0x3090305
	.long	50922249                        ; 0x3090309
	.long	50923267                        ; 0x3090703
	.long	50923271                        ; 0x3090707
	.long	50923781                        ; 0x3090905
	.long	50923789                        ; 0x309090d
	.long	50924289                        ; 0x3090b01
	.long	50924297                        ; 0x3090b09
	.long	51052803                        ; 0x30b0103
	.long	51053313                        ; 0x30b0301
	.long	51053319                        ; 0x30b0307
	.long	51053827                        ; 0x30b0503
	.long	51054337                        ; 0x30b0701
	.long	51054341                        ; 0x30b0705
	.long	51055363                        ; 0x30b0b03
	.long	51184897                        ; 0x30d0501
	.long	51184905                        ; 0x30d0509
	.long	51184911                        ; 0x30d050f
	.long	51185929                        ; 0x30d0909
	.long	51185933                        ; 0x30d090d
	.long	51314947                        ; 0x30f0103
	.long	51314951                        ; 0x30f0107
	.long	51315457                        ; 0x30f0301
	.long	51315461                        ; 0x30f0305
	.long	51315971                        ; 0x30f0503
	.long	51316491                        ; 0x30f070b
	.long	51316995                        ; 0x30f0903
	.long	51318021                        ; 0x30f0d05
	.long	51318529                        ; 0x30f0f01
	.long	83951873                        ; 0x5010101
	.long	83951875                        ; 0x5010103
	.long	83951879                        ; 0x5010107
	.long	83951883                        ; 0x501010b
	.long	83951887                        ; 0x501010f
	.long	83952385                        ; 0x5010301
	.long	83952389                        ; 0x5010305
	.long	83952393                        ; 0x5010309
	.long	83952397                        ; 0x501030d
	.long	83952899                        ; 0x5010503
	.long	83952903                        ; 0x5010507
	.long	83952911                        ; 0x501050f
	.long	83953409                        ; 0x5010701
	.long	83953413                        ; 0x5010705
	.long	83953923                        ; 0x5010903
	.long	83953927                        ; 0x5010907
	.long	83953931                        ; 0x501090b
	.long	83954433                        ; 0x5010b01
	.long	83954437                        ; 0x5010b05
	.long	83954959                        ; 0x5010d0f
	.long	83955457                        ; 0x5010f01
	.long	83955463                        ; 0x5010f07
	.long	83955467                        ; 0x5010f0b
	.long	84082945                        ; 0x5030101
	.long	84082949                        ; 0x5030105
	.long	84083457                        ; 0x5030301
	.long	84083463                        ; 0x5030307
	.long	84083471                        ; 0x503030f
	.long	84083973                        ; 0x5030505
	.long	84083979                        ; 0x503050b
	.long	84084483                        ; 0x5030703
	.long	84084489                        ; 0x5030709
	.long	84084997                        ; 0x5030905
	.long	84085507                        ; 0x5030b03
	.long	84214019                        ; 0x5050103
	.long	84214025                        ; 0x5050109
	.long	84214031                        ; 0x505010f
	.long	84215043                        ; 0x5050503
	.long	84215047                        ; 0x5050507
	.long	84215553                        ; 0x5050701
	.long	84215567                        ; 0x505070f
	.long	84216067                        ; 0x5050903
	.long	84216583                        ; 0x5050b07
	.long	84216591                        ; 0x5050b0f
	.long	84217603                        ; 0x5050f03
	.long	84217609                        ; 0x5050f09
	.long	84345089                        ; 0x5070101
	.long	84345093                        ; 0x5070105
	.long	84345099                        ; 0x507010b
	.long	84345603                        ; 0x5070303
	.long	84346117                        ; 0x5070505
	.long	84346121                        ; 0x5070509
	.long	84346627                        ; 0x5070703
	.long	84346631                        ; 0x5070707
	.long	84347141                        ; 0x5070905
	.long	84347649                        ; 0x5070b01
	.long	84348173                        ; 0x5070d0d
	.long	84476163                        ; 0x5090103
	.long	84476175                        ; 0x509010f
	.long	84477185                        ; 0x5090501
	.long	84477191                        ; 0x5090507
	.long	84477701                        ; 0x5090705
	.long	84477707                        ; 0x509070b
	.long	84478211                        ; 0x5090903
	.long	84479749                        ; 0x5090f05
	.long	84479755                        ; 0x5090f0b
	.long	84607241                        ; 0x50b0109
	.long	84607747                        ; 0x50b0303
	.long	84608261                        ; 0x50b0505
	.long	84608783                        ; 0x50b070f
	.long	84609281                        ; 0x50b0901
	.long	84609799                        ; 0x50b0b07
	.long	84610817                        ; 0x50b0f01
	.long	84738305                        ; 0x50d0101
	.long	84738309                        ; 0x50d0105
	.long	84738319                        ; 0x50d010f
	.long	84739331                        ; 0x50d0503
	.long	84740875                        ; 0x50d0b0b
	.long	84741379                        ; 0x50d0d03
	.long	84869387                        ; 0x50f010b
	.long	84869891                        ; 0x50f0303
	.long	84870413                        ; 0x50f050d
	.long	84870913                        ; 0x50f0701
	.long	84871431                        ; 0x50f0907
	.long	84871937                        ; 0x50f0b01
	.long	117506309                       ; 0x7010105
	.long	117506819                       ; 0x7010303
	;; [unrolled: 1-line block ×231, first 2 shown]
	.size	_ZL9iq3s_grid, 2048

	.type	_ZL13kvalues_mxfp4,@object      ; @_ZL13kvalues_mxfp4
	.section	.rodata.cst16,"aM",@progbits,16
	.p2align	4, 0x0
_ZL13kvalues_mxfp4:
	.ascii	"\000\001\002\003\004\006\b\f\000\377\376\375\374\372\370\364"
	.size	_ZL13kvalues_mxfp4, 16

	.type	__hip_cuid_b787aa5f2fd95123,@object ; @__hip_cuid_b787aa5f2fd95123
	.section	.bss,"aw",@nobits
	.globl	__hip_cuid_b787aa5f2fd95123
__hip_cuid_b787aa5f2fd95123:
	.byte	0                               ; 0x0
	.size	__hip_cuid_b787aa5f2fd95123, 1

	.ident	"AMD clang version 22.0.0git (https://github.com/RadeonOpenCompute/llvm-project roc-7.2.4 26084 f58b06dce1f9c15707c5f808fd002e18c2accf7e)"
	.section	".note.GNU-stack","",@progbits
	.addrsig
	.addrsig_sym __hip_cuid_b787aa5f2fd95123
	.amdgpu_metadata
---
amdhsa.kernels:
  - .args:
      - .actual_access:  read_only
        .address_space:  global
        .offset:         0
        .size:           8
        .value_kind:     global_buffer
      - .actual_access:  write_only
        .address_space:  global
        .offset:         8
        .size:           8
        .value_kind:     global_buffer
      - .offset:         16
        .size:           8
        .value_kind:     by_value
    .group_segment_fixed_size: 2176
    .kernarg_segment_align: 8
    .kernarg_segment_size: 24
    .language:       OpenCL C
    .language_version:
      - 2
      - 0
    .max_flat_workgroup_size: 1024
    .name:           _ZL25dequantize_block_q8_0_f16ILb0EEvPKvP6__halfl
    .private_segment_fixed_size: 0
    .sgpr_count:     8
    .sgpr_spill_count: 0
    .symbol:         _ZL25dequantize_block_q8_0_f16ILb0EEvPKvP6__halfl.kd
    .uniform_work_group_size: 1
    .uses_dynamic_stack: false
    .vgpr_count:     83
    .vgpr_spill_count: 0
    .wavefront_size: 32
    .workgroup_processor_mode: 1
  - .args:
      - .actual_access:  read_only
        .address_space:  global
        .offset:         0
        .size:           8
        .value_kind:     global_buffer
      - .actual_access:  write_only
        .address_space:  global
        .offset:         8
        .size:           8
        .value_kind:     global_buffer
      - .offset:         16
        .size:           8
        .value_kind:     by_value
    .group_segment_fixed_size: 2176
    .kernarg_segment_align: 8
    .kernarg_segment_size: 24
    .language:       OpenCL C
    .language_version:
      - 2
      - 0
    .max_flat_workgroup_size: 1024
    .name:           _ZL25dequantize_block_q8_0_f16ILb1EEvPKvP6__halfl
    .private_segment_fixed_size: 0
    .sgpr_count:     18
    .sgpr_spill_count: 0
    .symbol:         _ZL25dequantize_block_q8_0_f16ILb1EEvPKvP6__halfl.kd
    .uniform_work_group_size: 1
    .uses_dynamic_stack: false
    .vgpr_count:     9
    .vgpr_spill_count: 0
    .wavefront_size: 32
    .workgroup_processor_mode: 1
  - .args:
      - .actual_access:  read_only
        .address_space:  global
        .offset:         0
        .size:           8
        .value_kind:     global_buffer
      - .actual_access:  write_only
        .address_space:  global
        .offset:         8
        .size:           8
        .value_kind:     global_buffer
      - .offset:         16
        .size:           4
        .value_kind:     by_value
    .group_segment_fixed_size: 0
    .kernarg_segment_align: 8
    .kernarg_segment_size: 20
    .language:       OpenCL C
    .language_version:
      - 2
      - 0
    .max_flat_workgroup_size: 1024
    .name:           _ZL21dequantize_block_q4_0I6__halfEvPKvPT_i
    .private_segment_fixed_size: 0
    .sgpr_count:     10
    .sgpr_spill_count: 0
    .symbol:         _ZL21dequantize_block_q4_0I6__halfEvPKvPT_i.kd
    .uniform_work_group_size: 1
    .uses_dynamic_stack: false
    .vgpr_count:     15
    .vgpr_spill_count: 0
    .wavefront_size: 32
    .workgroup_processor_mode: 1
  - .args:
      - .actual_access:  read_only
        .address_space:  global
        .offset:         0
        .size:           8
        .value_kind:     global_buffer
      - .actual_access:  write_only
        .address_space:  global
        .offset:         8
        .size:           8
        .value_kind:     global_buffer
      - .offset:         16
        .size:           4
        .value_kind:     by_value
    .group_segment_fixed_size: 0
    .kernarg_segment_align: 8
    .kernarg_segment_size: 20
    .language:       OpenCL C
    .language_version:
      - 2
      - 0
    .max_flat_workgroup_size: 1024
    .name:           _ZL21dequantize_block_q4_1I6__halfEvPKvPT_i
    .private_segment_fixed_size: 0
    .sgpr_count:     10
    .sgpr_spill_count: 0
    .symbol:         _ZL21dequantize_block_q4_1I6__halfEvPKvPT_i.kd
    .uniform_work_group_size: 1
    .uses_dynamic_stack: false
    .vgpr_count:     14
    .vgpr_spill_count: 0
    .wavefront_size: 32
    .workgroup_processor_mode: 1
  - .args:
      - .actual_access:  read_only
        .address_space:  global
        .offset:         0
        .size:           8
        .value_kind:     global_buffer
      - .actual_access:  write_only
        .address_space:  global
        .offset:         8
        .size:           8
        .value_kind:     global_buffer
    .group_segment_fixed_size: 0
    .kernarg_segment_align: 8
    .kernarg_segment_size: 16
    .language:       OpenCL C
    .language_version:
      - 2
      - 0
    .max_flat_workgroup_size: 1024
    .name:           _ZL21dequantize_block_q2_KI6__halfEvPKvPT_
    .private_segment_fixed_size: 0
    .sgpr_count:     10
    .sgpr_spill_count: 0
    .symbol:         _ZL21dequantize_block_q2_KI6__halfEvPKvPT_.kd
    .uniform_work_group_size: 1
    .uses_dynamic_stack: false
    .vgpr_count:     16
    .vgpr_spill_count: 0
    .wavefront_size: 32
    .workgroup_processor_mode: 1
  - .args:
      - .actual_access:  read_only
        .address_space:  global
        .offset:         0
        .size:           8
        .value_kind:     global_buffer
      - .actual_access:  write_only
        .address_space:  global
        .offset:         8
        .size:           8
        .value_kind:     global_buffer
    .group_segment_fixed_size: 0
    .kernarg_segment_align: 8
    .kernarg_segment_size: 16
    .language:       OpenCL C
    .language_version:
      - 2
      - 0
    .max_flat_workgroup_size: 1024
    .name:           _ZL21dequantize_block_q3_KI6__halfEvPKvPT_
    .private_segment_fixed_size: 0
    .sgpr_count:     14
    .sgpr_spill_count: 0
    .symbol:         _ZL21dequantize_block_q3_KI6__halfEvPKvPT_.kd
    .uniform_work_group_size: 1
    .uses_dynamic_stack: false
    .vgpr_count:     14
    .vgpr_spill_count: 0
    .wavefront_size: 32
    .workgroup_processor_mode: 1
  - .args:
      - .actual_access:  read_only
        .address_space:  global
        .offset:         0
        .size:           8
        .value_kind:     global_buffer
      - .actual_access:  write_only
        .address_space:  global
        .offset:         8
        .size:           8
        .value_kind:     global_buffer
    .group_segment_fixed_size: 0
    .kernarg_segment_align: 8
    .kernarg_segment_size: 16
    .language:       OpenCL C
    .language_version:
      - 2
      - 0
    .max_flat_workgroup_size: 1024
    .name:           _ZL21dequantize_block_q4_KI6__halfEvPKvPT_
    .private_segment_fixed_size: 0
    .sgpr_count:     10
    .sgpr_spill_count: 0
    .symbol:         _ZL21dequantize_block_q4_KI6__halfEvPKvPT_.kd
    .uniform_work_group_size: 1
    .uses_dynamic_stack: false
    .vgpr_count:     17
    .vgpr_spill_count: 0
    .wavefront_size: 32
    .workgroup_processor_mode: 1
  - .args:
      - .actual_access:  read_only
        .address_space:  global
        .offset:         0
        .size:           8
        .value_kind:     global_buffer
      - .actual_access:  write_only
        .address_space:  global
        .offset:         8
        .size:           8
        .value_kind:     global_buffer
    .group_segment_fixed_size: 0
    .kernarg_segment_align: 8
    .kernarg_segment_size: 16
    .language:       OpenCL C
    .language_version:
      - 2
      - 0
    .max_flat_workgroup_size: 1024
    .name:           _ZL21dequantize_block_q5_KI6__halfEvPKvPT_
    .private_segment_fixed_size: 0
    .sgpr_count:     10
    .sgpr_spill_count: 0
    .symbol:         _ZL21dequantize_block_q5_KI6__halfEvPKvPT_.kd
    .uniform_work_group_size: 1
    .uses_dynamic_stack: false
    .vgpr_count:     16
    .vgpr_spill_count: 0
    .wavefront_size: 32
    .workgroup_processor_mode: 1
  - .args:
      - .actual_access:  read_only
        .address_space:  global
        .offset:         0
        .size:           8
        .value_kind:     global_buffer
      - .actual_access:  write_only
        .address_space:  global
        .offset:         8
        .size:           8
        .value_kind:     global_buffer
    .group_segment_fixed_size: 0
    .kernarg_segment_align: 8
    .kernarg_segment_size: 16
    .language:       OpenCL C
    .language_version:
      - 2
      - 0
    .max_flat_workgroup_size: 1024
    .name:           _ZL21dequantize_block_q6_KI6__halfEvPKvPT_
    .private_segment_fixed_size: 0
    .sgpr_count:     10
    .sgpr_spill_count: 0
    .symbol:         _ZL21dequantize_block_q6_KI6__halfEvPKvPT_.kd
    .uniform_work_group_size: 1
    .uses_dynamic_stack: false
    .vgpr_count:     15
    .vgpr_spill_count: 0
    .wavefront_size: 32
    .workgroup_processor_mode: 1
  - .args:
      - .actual_access:  read_only
        .address_space:  global
        .offset:         0
        .size:           8
        .value_kind:     global_buffer
      - .actual_access:  write_only
        .address_space:  global
        .offset:         8
        .size:           8
        .value_kind:     global_buffer
    .group_segment_fixed_size: 0
    .kernarg_segment_align: 8
    .kernarg_segment_size: 16
    .language:       OpenCL C
    .language_version:
      - 2
      - 0
    .max_flat_workgroup_size: 1024
    .name:           _ZL24dequantize_block_iq2_xxsI6__halfEvPKvPT_
    .private_segment_fixed_size: 0
    .sgpr_count:     10
    .sgpr_spill_count: 0
    .symbol:         _ZL24dequantize_block_iq2_xxsI6__halfEvPKvPT_.kd
    .uniform_work_group_size: 1
    .uses_dynamic_stack: false
    .vgpr_count:     20
    .vgpr_spill_count: 0
    .wavefront_size: 32
    .workgroup_processor_mode: 1
  - .args:
      - .actual_access:  read_only
        .address_space:  global
        .offset:         0
        .size:           8
        .value_kind:     global_buffer
      - .actual_access:  write_only
        .address_space:  global
        .offset:         8
        .size:           8
        .value_kind:     global_buffer
    .group_segment_fixed_size: 0
    .kernarg_segment_align: 8
    .kernarg_segment_size: 16
    .language:       OpenCL C
    .language_version:
      - 2
      - 0
    .max_flat_workgroup_size: 1024
    .name:           _ZL23dequantize_block_iq2_xsI6__halfEvPKvPT_
    .private_segment_fixed_size: 0
    .sgpr_count:     10
    .sgpr_spill_count: 0
    .symbol:         _ZL23dequantize_block_iq2_xsI6__halfEvPKvPT_.kd
    .uniform_work_group_size: 1
    .uses_dynamic_stack: false
    .vgpr_count:     20
    .vgpr_spill_count: 0
    .wavefront_size: 32
    .workgroup_processor_mode: 1
  - .args:
      - .actual_access:  read_only
        .address_space:  global
        .offset:         0
        .size:           8
        .value_kind:     global_buffer
      - .actual_access:  write_only
        .address_space:  global
        .offset:         8
        .size:           8
        .value_kind:     global_buffer
    .group_segment_fixed_size: 0
    .kernarg_segment_align: 8
    .kernarg_segment_size: 16
    .language:       OpenCL C
    .language_version:
      - 2
      - 0
    .max_flat_workgroup_size: 1024
    .name:           _ZL22dequantize_block_iq2_sI6__halfEvPKvPT_
    .private_segment_fixed_size: 0
    .sgpr_count:     10
    .sgpr_spill_count: 0
    .symbol:         _ZL22dequantize_block_iq2_sI6__halfEvPKvPT_.kd
    .uniform_work_group_size: 1
    .uses_dynamic_stack: false
    .vgpr_count:     20
    .vgpr_spill_count: 0
    .wavefront_size: 32
    .workgroup_processor_mode: 1
  - .args:
      - .actual_access:  read_only
        .address_space:  global
        .offset:         0
        .size:           8
        .value_kind:     global_buffer
      - .actual_access:  write_only
        .address_space:  global
        .offset:         8
        .size:           8
        .value_kind:     global_buffer
    .group_segment_fixed_size: 0
    .kernarg_segment_align: 8
    .kernarg_segment_size: 16
    .language:       OpenCL C
    .language_version:
      - 2
      - 0
    .max_flat_workgroup_size: 1024
    .name:           _ZL24dequantize_block_iq3_xxsI6__halfEvPKvPT_
    .private_segment_fixed_size: 0
    .sgpr_count:     10
    .sgpr_spill_count: 0
    .symbol:         _ZL24dequantize_block_iq3_xxsI6__halfEvPKvPT_.kd
    .uniform_work_group_size: 1
    .uses_dynamic_stack: false
    .vgpr_count:     20
    .vgpr_spill_count: 0
    .wavefront_size: 32
    .workgroup_processor_mode: 1
  - .args:
      - .actual_access:  read_only
        .address_space:  global
        .offset:         0
        .size:           8
        .value_kind:     global_buffer
      - .actual_access:  write_only
        .address_space:  global
        .offset:         8
        .size:           8
        .value_kind:     global_buffer
    .group_segment_fixed_size: 0
    .kernarg_segment_align: 8
    .kernarg_segment_size: 16
    .language:       OpenCL C
    .language_version:
      - 2
      - 0
    .max_flat_workgroup_size: 1024
    .name:           _ZL22dequantize_block_iq1_sI6__halfEvPKvPT_
    .private_segment_fixed_size: 0
    .sgpr_count:     10
    .sgpr_spill_count: 0
    .symbol:         _ZL22dequantize_block_iq1_sI6__halfEvPKvPT_.kd
    .uniform_work_group_size: 1
    .uses_dynamic_stack: false
    .vgpr_count:     15
    .vgpr_spill_count: 0
    .wavefront_size: 32
    .workgroup_processor_mode: 1
  - .args:
      - .actual_access:  read_only
        .address_space:  global
        .offset:         0
        .size:           8
        .value_kind:     global_buffer
      - .actual_access:  write_only
        .address_space:  global
        .offset:         8
        .size:           8
        .value_kind:     global_buffer
    .group_segment_fixed_size: 0
    .kernarg_segment_align: 8
    .kernarg_segment_size: 16
    .language:       OpenCL C
    .language_version:
      - 2
      - 0
    .max_flat_workgroup_size: 1024
    .name:           _ZL22dequantize_block_iq1_mI6__halfEvPKvPT_
    .private_segment_fixed_size: 0
    .sgpr_count:     10
    .sgpr_spill_count: 0
    .symbol:         _ZL22dequantize_block_iq1_mI6__halfEvPKvPT_.kd
    .uniform_work_group_size: 1
    .uses_dynamic_stack: false
    .vgpr_count:     14
    .vgpr_spill_count: 0
    .wavefront_size: 32
    .workgroup_processor_mode: 1
  - .args:
      - .actual_access:  read_only
        .address_space:  global
        .offset:         0
        .size:           8
        .value_kind:     global_buffer
      - .actual_access:  write_only
        .address_space:  global
        .offset:         8
        .size:           8
        .value_kind:     global_buffer
    .group_segment_fixed_size: 0
    .kernarg_segment_align: 8
    .kernarg_segment_size: 16
    .language:       OpenCL C
    .language_version:
      - 2
      - 0
    .max_flat_workgroup_size: 1024
    .name:           _ZL23dequantize_block_iq4_nlI6__halfEvPKvPT_
    .private_segment_fixed_size: 0
    .sgpr_count:     10
    .sgpr_spill_count: 0
    .symbol:         _ZL23dequantize_block_iq4_nlI6__halfEvPKvPT_.kd
    .uniform_work_group_size: 1
    .uses_dynamic_stack: false
    .vgpr_count:     14
    .vgpr_spill_count: 0
    .wavefront_size: 32
    .workgroup_processor_mode: 1
  - .args:
      - .actual_access:  read_only
        .address_space:  global
        .offset:         0
        .size:           8
        .value_kind:     global_buffer
      - .actual_access:  write_only
        .address_space:  global
        .offset:         8
        .size:           8
        .value_kind:     global_buffer
    .group_segment_fixed_size: 0
    .kernarg_segment_align: 8
    .kernarg_segment_size: 16
    .language:       OpenCL C
    .language_version:
      - 2
      - 0
    .max_flat_workgroup_size: 1024
    .name:           _ZL23dequantize_block_iq4_xsI6__halfEvPKvPT_
    .private_segment_fixed_size: 0
    .sgpr_count:     10
    .sgpr_spill_count: 0
    .symbol:         _ZL23dequantize_block_iq4_xsI6__halfEvPKvPT_.kd
    .uniform_work_group_size: 1
    .uses_dynamic_stack: false
    .vgpr_count:     15
    .vgpr_spill_count: 0
    .wavefront_size: 32
    .workgroup_processor_mode: 1
  - .args:
      - .actual_access:  read_only
        .address_space:  global
        .offset:         0
        .size:           8
        .value_kind:     global_buffer
      - .actual_access:  write_only
        .address_space:  global
        .offset:         8
        .size:           8
        .value_kind:     global_buffer
    .group_segment_fixed_size: 0
    .kernarg_segment_align: 8
    .kernarg_segment_size: 16
    .language:       OpenCL C
    .language_version:
      - 2
      - 0
    .max_flat_workgroup_size: 1024
    .name:           _ZL22dequantize_block_iq3_sI6__halfEvPKvPT_
    .private_segment_fixed_size: 0
    .sgpr_count:     10
    .sgpr_spill_count: 0
    .symbol:         _ZL22dequantize_block_iq3_sI6__halfEvPKvPT_.kd
    .uniform_work_group_size: 1
    .uses_dynamic_stack: false
    .vgpr_count:     20
    .vgpr_spill_count: 0
    .wavefront_size: 32
    .workgroup_processor_mode: 1
  - .args:
      - .actual_access:  read_only
        .address_space:  global
        .offset:         0
        .size:           8
        .value_kind:     global_buffer
      - .actual_access:  write_only
        .address_space:  global
        .offset:         8
        .size:           8
        .value_kind:     global_buffer
    .group_segment_fixed_size: 0
    .kernarg_segment_align: 8
    .kernarg_segment_size: 16
    .language:       OpenCL C
    .language_version:
      - 2
      - 0
    .max_flat_workgroup_size: 1024
    .name:           _ZL22dequantize_block_mxfp4I6__halfEvPKvPT_
    .private_segment_fixed_size: 0
    .sgpr_count:     10
    .sgpr_spill_count: 0
    .symbol:         _ZL22dequantize_block_mxfp4I6__halfEvPKvPT_.kd
    .uniform_work_group_size: 1
    .uses_dynamic_stack: false
    .vgpr_count:     13
    .vgpr_spill_count: 0
    .wavefront_size: 32
    .workgroup_processor_mode: 1
  - .args:
      - .actual_access:  read_only
        .address_space:  global
        .offset:         0
        .size:           8
        .value_kind:     global_buffer
      - .actual_access:  write_only
        .address_space:  global
        .offset:         8
        .size:           8
        .value_kind:     global_buffer
      - .offset:         16
        .size:           8
        .value_kind:     by_value
    .group_segment_fixed_size: 0
    .kernarg_segment_align: 8
    .kernarg_segment_size: 24
    .language:       OpenCL C
    .language_version:
      - 2
      - 0
    .max_flat_workgroup_size: 1024
    .name:           _ZL22dequantize_block_nvfp4I6__halfEvPKvPT_l
    .private_segment_fixed_size: 0
    .sgpr_count:     12
    .sgpr_spill_count: 0
    .symbol:         _ZL22dequantize_block_nvfp4I6__halfEvPKvPT_l.kd
    .uniform_work_group_size: 1
    .uses_dynamic_stack: false
    .vgpr_count:     6
    .vgpr_spill_count: 0
    .wavefront_size: 32
    .workgroup_processor_mode: 1
  - .args:
      - .actual_access:  read_only
        .address_space:  global
        .offset:         0
        .size:           8
        .value_kind:     global_buffer
      - .actual_access:  write_only
        .address_space:  global
        .offset:         8
        .size:           8
        .value_kind:     global_buffer
      - .offset:         16
        .size:           4
        .value_kind:     by_value
    .group_segment_fixed_size: 0
    .kernarg_segment_align: 8
    .kernarg_segment_size: 20
    .language:       OpenCL C
    .language_version:
      - 2
      - 0
    .max_flat_workgroup_size: 1024
    .name:           _ZL21dequantize_block_q4_0IfEvPKvPT_i
    .private_segment_fixed_size: 0
    .sgpr_count:     10
    .sgpr_spill_count: 0
    .symbol:         _ZL21dequantize_block_q4_0IfEvPKvPT_i.kd
    .uniform_work_group_size: 1
    .uses_dynamic_stack: false
    .vgpr_count:     15
    .vgpr_spill_count: 0
    .wavefront_size: 32
    .workgroup_processor_mode: 1
  - .args:
      - .actual_access:  read_only
        .address_space:  global
        .offset:         0
        .size:           8
        .value_kind:     global_buffer
      - .actual_access:  write_only
        .address_space:  global
        .offset:         8
        .size:           8
        .value_kind:     global_buffer
      - .offset:         16
        .size:           4
        .value_kind:     by_value
    .group_segment_fixed_size: 0
    .kernarg_segment_align: 8
    .kernarg_segment_size: 20
    .language:       OpenCL C
    .language_version:
      - 2
      - 0
    .max_flat_workgroup_size: 1024
    .name:           _ZL21dequantize_block_q4_1IfEvPKvPT_i
    .private_segment_fixed_size: 0
    .sgpr_count:     10
    .sgpr_spill_count: 0
    .symbol:         _ZL21dequantize_block_q4_1IfEvPKvPT_i.kd
    .uniform_work_group_size: 1
    .uses_dynamic_stack: false
    .vgpr_count:     14
    .vgpr_spill_count: 0
    .wavefront_size: 32
    .workgroup_processor_mode: 1
  - .args:
      - .actual_access:  read_only
        .address_space:  global
        .offset:         0
        .size:           8
        .value_kind:     global_buffer
      - .actual_access:  write_only
        .address_space:  global
        .offset:         8
        .size:           8
        .value_kind:     global_buffer
    .group_segment_fixed_size: 0
    .kernarg_segment_align: 8
    .kernarg_segment_size: 16
    .language:       OpenCL C
    .language_version:
      - 2
      - 0
    .max_flat_workgroup_size: 1024
    .name:           _ZL21dequantize_block_q2_KIfEvPKvPT_
    .private_segment_fixed_size: 0
    .sgpr_count:     10
    .sgpr_spill_count: 0
    .symbol:         _ZL21dequantize_block_q2_KIfEvPKvPT_.kd
    .uniform_work_group_size: 1
    .uses_dynamic_stack: false
    .vgpr_count:     16
    .vgpr_spill_count: 0
    .wavefront_size: 32
    .workgroup_processor_mode: 1
  - .args:
      - .actual_access:  read_only
        .address_space:  global
        .offset:         0
        .size:           8
        .value_kind:     global_buffer
      - .actual_access:  write_only
        .address_space:  global
        .offset:         8
        .size:           8
        .value_kind:     global_buffer
    .group_segment_fixed_size: 0
    .kernarg_segment_align: 8
    .kernarg_segment_size: 16
    .language:       OpenCL C
    .language_version:
      - 2
      - 0
    .max_flat_workgroup_size: 1024
    .name:           _ZL21dequantize_block_q3_KIfEvPKvPT_
    .private_segment_fixed_size: 0
    .sgpr_count:     14
    .sgpr_spill_count: 0
    .symbol:         _ZL21dequantize_block_q3_KIfEvPKvPT_.kd
    .uniform_work_group_size: 1
    .uses_dynamic_stack: false
    .vgpr_count:     14
    .vgpr_spill_count: 0
    .wavefront_size: 32
    .workgroup_processor_mode: 1
  - .args:
      - .actual_access:  read_only
        .address_space:  global
        .offset:         0
        .size:           8
        .value_kind:     global_buffer
      - .actual_access:  write_only
        .address_space:  global
        .offset:         8
        .size:           8
        .value_kind:     global_buffer
    .group_segment_fixed_size: 0
    .kernarg_segment_align: 8
    .kernarg_segment_size: 16
    .language:       OpenCL C
    .language_version:
      - 2
      - 0
    .max_flat_workgroup_size: 1024
    .name:           _ZL21dequantize_block_q4_KIfEvPKvPT_
    .private_segment_fixed_size: 0
    .sgpr_count:     10
    .sgpr_spill_count: 0
    .symbol:         _ZL21dequantize_block_q4_KIfEvPKvPT_.kd
    .uniform_work_group_size: 1
    .uses_dynamic_stack: false
    .vgpr_count:     17
    .vgpr_spill_count: 0
    .wavefront_size: 32
    .workgroup_processor_mode: 1
  - .args:
      - .actual_access:  read_only
        .address_space:  global
        .offset:         0
        .size:           8
        .value_kind:     global_buffer
      - .actual_access:  write_only
        .address_space:  global
        .offset:         8
        .size:           8
        .value_kind:     global_buffer
    .group_segment_fixed_size: 0
    .kernarg_segment_align: 8
    .kernarg_segment_size: 16
    .language:       OpenCL C
    .language_version:
      - 2
      - 0
    .max_flat_workgroup_size: 1024
    .name:           _ZL21dequantize_block_q5_KIfEvPKvPT_
    .private_segment_fixed_size: 0
    .sgpr_count:     10
    .sgpr_spill_count: 0
    .symbol:         _ZL21dequantize_block_q5_KIfEvPKvPT_.kd
    .uniform_work_group_size: 1
    .uses_dynamic_stack: false
    .vgpr_count:     16
    .vgpr_spill_count: 0
    .wavefront_size: 32
    .workgroup_processor_mode: 1
  - .args:
      - .actual_access:  read_only
        .address_space:  global
        .offset:         0
        .size:           8
        .value_kind:     global_buffer
      - .actual_access:  write_only
        .address_space:  global
        .offset:         8
        .size:           8
        .value_kind:     global_buffer
    .group_segment_fixed_size: 0
    .kernarg_segment_align: 8
    .kernarg_segment_size: 16
    .language:       OpenCL C
    .language_version:
      - 2
      - 0
    .max_flat_workgroup_size: 1024
    .name:           _ZL21dequantize_block_q6_KIfEvPKvPT_
    .private_segment_fixed_size: 0
    .sgpr_count:     10
    .sgpr_spill_count: 0
    .symbol:         _ZL21dequantize_block_q6_KIfEvPKvPT_.kd
    .uniform_work_group_size: 1
    .uses_dynamic_stack: false
    .vgpr_count:     15
    .vgpr_spill_count: 0
    .wavefront_size: 32
    .workgroup_processor_mode: 1
  - .args:
      - .actual_access:  read_only
        .address_space:  global
        .offset:         0
        .size:           8
        .value_kind:     global_buffer
      - .actual_access:  write_only
        .address_space:  global
        .offset:         8
        .size:           8
        .value_kind:     global_buffer
    .group_segment_fixed_size: 0
    .kernarg_segment_align: 8
    .kernarg_segment_size: 16
    .language:       OpenCL C
    .language_version:
      - 2
      - 0
    .max_flat_workgroup_size: 1024
    .name:           _ZL24dequantize_block_iq2_xxsIfEvPKvPT_
    .private_segment_fixed_size: 0
    .sgpr_count:     10
    .sgpr_spill_count: 0
    .symbol:         _ZL24dequantize_block_iq2_xxsIfEvPKvPT_.kd
    .uniform_work_group_size: 1
    .uses_dynamic_stack: false
    .vgpr_count:     21
    .vgpr_spill_count: 0
    .wavefront_size: 32
    .workgroup_processor_mode: 1
  - .args:
      - .actual_access:  read_only
        .address_space:  global
        .offset:         0
        .size:           8
        .value_kind:     global_buffer
      - .actual_access:  write_only
        .address_space:  global
        .offset:         8
        .size:           8
        .value_kind:     global_buffer
    .group_segment_fixed_size: 0
    .kernarg_segment_align: 8
    .kernarg_segment_size: 16
    .language:       OpenCL C
    .language_version:
      - 2
      - 0
    .max_flat_workgroup_size: 1024
    .name:           _ZL23dequantize_block_iq2_xsIfEvPKvPT_
    .private_segment_fixed_size: 0
    .sgpr_count:     10
    .sgpr_spill_count: 0
    .symbol:         _ZL23dequantize_block_iq2_xsIfEvPKvPT_.kd
    .uniform_work_group_size: 1
    .uses_dynamic_stack: false
    .vgpr_count:     21
    .vgpr_spill_count: 0
    .wavefront_size: 32
    .workgroup_processor_mode: 1
  - .args:
      - .actual_access:  read_only
        .address_space:  global
        .offset:         0
        .size:           8
        .value_kind:     global_buffer
      - .actual_access:  write_only
        .address_space:  global
        .offset:         8
        .size:           8
        .value_kind:     global_buffer
    .group_segment_fixed_size: 0
    .kernarg_segment_align: 8
    .kernarg_segment_size: 16
    .language:       OpenCL C
    .language_version:
      - 2
      - 0
    .max_flat_workgroup_size: 1024
    .name:           _ZL22dequantize_block_iq2_sIfEvPKvPT_
    .private_segment_fixed_size: 0
    .sgpr_count:     10
    .sgpr_spill_count: 0
    .symbol:         _ZL22dequantize_block_iq2_sIfEvPKvPT_.kd
    .uniform_work_group_size: 1
    .uses_dynamic_stack: false
    .vgpr_count:     21
    .vgpr_spill_count: 0
    .wavefront_size: 32
    .workgroup_processor_mode: 1
  - .args:
      - .actual_access:  read_only
        .address_space:  global
        .offset:         0
        .size:           8
        .value_kind:     global_buffer
      - .actual_access:  write_only
        .address_space:  global
        .offset:         8
        .size:           8
        .value_kind:     global_buffer
    .group_segment_fixed_size: 0
    .kernarg_segment_align: 8
    .kernarg_segment_size: 16
    .language:       OpenCL C
    .language_version:
      - 2
      - 0
    .max_flat_workgroup_size: 1024
    .name:           _ZL24dequantize_block_iq3_xxsIfEvPKvPT_
    .private_segment_fixed_size: 0
    .sgpr_count:     10
    .sgpr_spill_count: 0
    .symbol:         _ZL24dequantize_block_iq3_xxsIfEvPKvPT_.kd
    .uniform_work_group_size: 1
    .uses_dynamic_stack: false
    .vgpr_count:     20
    .vgpr_spill_count: 0
    .wavefront_size: 32
    .workgroup_processor_mode: 1
  - .args:
      - .actual_access:  read_only
        .address_space:  global
        .offset:         0
        .size:           8
        .value_kind:     global_buffer
      - .actual_access:  write_only
        .address_space:  global
        .offset:         8
        .size:           8
        .value_kind:     global_buffer
    .group_segment_fixed_size: 0
    .kernarg_segment_align: 8
    .kernarg_segment_size: 16
    .language:       OpenCL C
    .language_version:
      - 2
      - 0
    .max_flat_workgroup_size: 1024
    .name:           _ZL22dequantize_block_iq1_sIfEvPKvPT_
    .private_segment_fixed_size: 0
    .sgpr_count:     10
    .sgpr_spill_count: 0
    .symbol:         _ZL22dequantize_block_iq1_sIfEvPKvPT_.kd
    .uniform_work_group_size: 1
    .uses_dynamic_stack: false
    .vgpr_count:     14
    .vgpr_spill_count: 0
    .wavefront_size: 32
    .workgroup_processor_mode: 1
  - .args:
      - .actual_access:  read_only
        .address_space:  global
        .offset:         0
        .size:           8
        .value_kind:     global_buffer
      - .actual_access:  write_only
        .address_space:  global
        .offset:         8
        .size:           8
        .value_kind:     global_buffer
    .group_segment_fixed_size: 0
    .kernarg_segment_align: 8
    .kernarg_segment_size: 16
    .language:       OpenCL C
    .language_version:
      - 2
      - 0
    .max_flat_workgroup_size: 1024
    .name:           _ZL22dequantize_block_iq1_mIfEvPKvPT_
    .private_segment_fixed_size: 0
    .sgpr_count:     10
    .sgpr_spill_count: 0
    .symbol:         _ZL22dequantize_block_iq1_mIfEvPKvPT_.kd
    .uniform_work_group_size: 1
    .uses_dynamic_stack: false
    .vgpr_count:     14
    .vgpr_spill_count: 0
    .wavefront_size: 32
    .workgroup_processor_mode: 1
  - .args:
      - .actual_access:  read_only
        .address_space:  global
        .offset:         0
        .size:           8
        .value_kind:     global_buffer
      - .actual_access:  write_only
        .address_space:  global
        .offset:         8
        .size:           8
        .value_kind:     global_buffer
    .group_segment_fixed_size: 0
    .kernarg_segment_align: 8
    .kernarg_segment_size: 16
    .language:       OpenCL C
    .language_version:
      - 2
      - 0
    .max_flat_workgroup_size: 1024
    .name:           _ZL23dequantize_block_iq4_nlIfEvPKvPT_
    .private_segment_fixed_size: 0
    .sgpr_count:     10
    .sgpr_spill_count: 0
    .symbol:         _ZL23dequantize_block_iq4_nlIfEvPKvPT_.kd
    .uniform_work_group_size: 1
    .uses_dynamic_stack: false
    .vgpr_count:     14
    .vgpr_spill_count: 0
    .wavefront_size: 32
    .workgroup_processor_mode: 1
  - .args:
      - .actual_access:  read_only
        .address_space:  global
        .offset:         0
        .size:           8
        .value_kind:     global_buffer
      - .actual_access:  write_only
        .address_space:  global
        .offset:         8
        .size:           8
        .value_kind:     global_buffer
    .group_segment_fixed_size: 0
    .kernarg_segment_align: 8
    .kernarg_segment_size: 16
    .language:       OpenCL C
    .language_version:
      - 2
      - 0
    .max_flat_workgroup_size: 1024
    .name:           _ZL23dequantize_block_iq4_xsIfEvPKvPT_
    .private_segment_fixed_size: 0
    .sgpr_count:     10
    .sgpr_spill_count: 0
    .symbol:         _ZL23dequantize_block_iq4_xsIfEvPKvPT_.kd
    .uniform_work_group_size: 1
    .uses_dynamic_stack: false
    .vgpr_count:     16
    .vgpr_spill_count: 0
    .wavefront_size: 32
    .workgroup_processor_mode: 1
  - .args:
      - .actual_access:  read_only
        .address_space:  global
        .offset:         0
        .size:           8
        .value_kind:     global_buffer
      - .actual_access:  write_only
        .address_space:  global
        .offset:         8
        .size:           8
        .value_kind:     global_buffer
    .group_segment_fixed_size: 0
    .kernarg_segment_align: 8
    .kernarg_segment_size: 16
    .language:       OpenCL C
    .language_version:
      - 2
      - 0
    .max_flat_workgroup_size: 1024
    .name:           _ZL22dequantize_block_iq3_sIfEvPKvPT_
    .private_segment_fixed_size: 0
    .sgpr_count:     10
    .sgpr_spill_count: 0
    .symbol:         _ZL22dequantize_block_iq3_sIfEvPKvPT_.kd
    .uniform_work_group_size: 1
    .uses_dynamic_stack: false
    .vgpr_count:     21
    .vgpr_spill_count: 0
    .wavefront_size: 32
    .workgroup_processor_mode: 1
  - .args:
      - .actual_access:  read_only
        .address_space:  global
        .offset:         0
        .size:           8
        .value_kind:     global_buffer
      - .actual_access:  write_only
        .address_space:  global
        .offset:         8
        .size:           8
        .value_kind:     global_buffer
    .group_segment_fixed_size: 0
    .kernarg_segment_align: 8
    .kernarg_segment_size: 16
    .language:       OpenCL C
    .language_version:
      - 2
      - 0
    .max_flat_workgroup_size: 1024
    .name:           _ZL22dequantize_block_mxfp4IfEvPKvPT_
    .private_segment_fixed_size: 0
    .sgpr_count:     10
    .sgpr_spill_count: 0
    .symbol:         _ZL22dequantize_block_mxfp4IfEvPKvPT_.kd
    .uniform_work_group_size: 1
    .uses_dynamic_stack: false
    .vgpr_count:     14
    .vgpr_spill_count: 0
    .wavefront_size: 32
    .workgroup_processor_mode: 1
  - .args:
      - .actual_access:  read_only
        .address_space:  global
        .offset:         0
        .size:           8
        .value_kind:     global_buffer
      - .actual_access:  write_only
        .address_space:  global
        .offset:         8
        .size:           8
        .value_kind:     global_buffer
      - .offset:         16
        .size:           8
        .value_kind:     by_value
    .group_segment_fixed_size: 0
    .kernarg_segment_align: 8
    .kernarg_segment_size: 24
    .language:       OpenCL C
    .language_version:
      - 2
      - 0
    .max_flat_workgroup_size: 1024
    .name:           _ZL22dequantize_block_nvfp4IfEvPKvPT_l
    .private_segment_fixed_size: 0
    .sgpr_count:     12
    .sgpr_spill_count: 0
    .symbol:         _ZL22dequantize_block_nvfp4IfEvPKvPT_l.kd
    .uniform_work_group_size: 1
    .uses_dynamic_stack: false
    .vgpr_count:     6
    .vgpr_spill_count: 0
    .wavefront_size: 32
    .workgroup_processor_mode: 1
  - .args:
      - .actual_access:  read_only
        .address_space:  global
        .offset:         0
        .size:           8
        .value_kind:     global_buffer
      - .actual_access:  write_only
        .address_space:  global
        .offset:         8
        .size:           8
        .value_kind:     global_buffer
      - .offset:         16
        .size:           8
        .value_kind:     by_value
      - .offset:         24
        .size:           8
        .value_kind:     by_value
      - .offset:         32
        .size:           8
        .value_kind:     by_value
      - .offset:         40
        .size:           12
        .value_kind:     by_value
      - .offset:         56
        .size:           8
        .value_kind:     by_value
      - .offset:         64
        .size:           8
        .value_kind:     by_value
      - .offset:         72
        .size:           8
        .value_kind:     by_value
      - .offset:         80
        .size:           4
        .value_kind:     hidden_block_count_x
      - .offset:         84
        .size:           4
        .value_kind:     hidden_block_count_y
      - .offset:         88
        .size:           4
        .value_kind:     hidden_block_count_z
      - .offset:         92
        .size:           2
        .value_kind:     hidden_group_size_x
      - .offset:         94
        .size:           2
        .value_kind:     hidden_group_size_y
      - .offset:         96
        .size:           2
        .value_kind:     hidden_group_size_z
      - .offset:         98
        .size:           2
        .value_kind:     hidden_remainder_x
      - .offset:         100
        .size:           2
        .value_kind:     hidden_remainder_y
      - .offset:         102
        .size:           2
        .value_kind:     hidden_remainder_z
      - .offset:         120
        .size:           8
        .value_kind:     hidden_global_offset_x
      - .offset:         128
        .size:           8
        .value_kind:     hidden_global_offset_y
      - .offset:         136
        .size:           8
        .value_kind:     hidden_global_offset_z
      - .offset:         144
        .size:           2
        .value_kind:     hidden_grid_dims
    .group_segment_fixed_size: 0
    .kernarg_segment_align: 8
    .kernarg_segment_size: 336
    .language:       OpenCL C
    .language_version:
      - 2
      - 0
    .max_flat_workgroup_size: 1024
    .name:           _ZL13convert_unaryIf6__halfEvPKvPT0_lll15HIP_vector_typeIjLj3EElll
    .private_segment_fixed_size: 0
    .sgpr_count:     48
    .sgpr_spill_count: 0
    .symbol:         _ZL13convert_unaryIf6__halfEvPKvPT0_lll15HIP_vector_typeIjLj3EElll.kd
    .uniform_work_group_size: 1
    .uses_dynamic_stack: false
    .vgpr_count:     8
    .vgpr_spill_count: 0
    .wavefront_size: 32
    .workgroup_processor_mode: 1
  - .args:
      - .actual_access:  read_only
        .address_space:  global
        .offset:         0
        .size:           8
        .value_kind:     global_buffer
      - .actual_access:  write_only
        .address_space:  global
        .offset:         8
        .size:           8
        .value_kind:     global_buffer
      - .offset:         16
        .size:           8
        .value_kind:     by_value
      - .offset:         24
        .size:           8
        .value_kind:     by_value
      - .offset:         32
        .size:           8
        .value_kind:     by_value
      - .offset:         40
        .size:           12
        .value_kind:     by_value
      - .offset:         56
        .size:           8
        .value_kind:     by_value
      - .offset:         64
        .size:           8
        .value_kind:     by_value
      - .offset:         72
        .size:           8
        .value_kind:     by_value
      - .offset:         80
        .size:           4
        .value_kind:     hidden_block_count_x
      - .offset:         84
        .size:           4
        .value_kind:     hidden_block_count_y
      - .offset:         88
        .size:           4
        .value_kind:     hidden_block_count_z
      - .offset:         92
        .size:           2
        .value_kind:     hidden_group_size_x
      - .offset:         94
        .size:           2
        .value_kind:     hidden_group_size_y
      - .offset:         96
        .size:           2
        .value_kind:     hidden_group_size_z
      - .offset:         98
        .size:           2
        .value_kind:     hidden_remainder_x
      - .offset:         100
        .size:           2
        .value_kind:     hidden_remainder_y
      - .offset:         102
        .size:           2
        .value_kind:     hidden_remainder_z
      - .offset:         120
        .size:           8
        .value_kind:     hidden_global_offset_x
      - .offset:         128
        .size:           8
        .value_kind:     hidden_global_offset_y
      - .offset:         136
        .size:           8
        .value_kind:     hidden_global_offset_z
      - .offset:         144
        .size:           2
        .value_kind:     hidden_grid_dims
    .group_segment_fixed_size: 0
    .kernarg_segment_align: 8
    .kernarg_segment_size: 336
    .language:       OpenCL C
    .language_version:
      - 2
      - 0
    .max_flat_workgroup_size: 1024
    .name:           _ZL16dequantize_blockILi128ELi1EXadL_ZL15dequantize_q1_0PKvliR15HIP_vector_typeIfLj2EEEE6__halfEvS1_PT2_lllS2_IjLj3EElll
    .private_segment_fixed_size: 0
    .sgpr_count:     48
    .sgpr_spill_count: 0
    .symbol:         _ZL16dequantize_blockILi128ELi1EXadL_ZL15dequantize_q1_0PKvliR15HIP_vector_typeIfLj2EEEE6__halfEvS1_PT2_lllS2_IjLj3EElll.kd
    .uniform_work_group_size: 1
    .uses_dynamic_stack: false
    .vgpr_count:     13
    .vgpr_spill_count: 0
    .wavefront_size: 32
    .workgroup_processor_mode: 1
  - .args:
      - .actual_access:  read_only
        .address_space:  global
        .offset:         0
        .size:           8
        .value_kind:     global_buffer
      - .actual_access:  write_only
        .address_space:  global
        .offset:         8
        .size:           8
        .value_kind:     global_buffer
      - .offset:         16
        .size:           8
        .value_kind:     by_value
      - .offset:         24
        .size:           8
        .value_kind:     by_value
      - .offset:         32
        .size:           8
        .value_kind:     by_value
      - .offset:         40
        .size:           12
        .value_kind:     by_value
      - .offset:         56
        .size:           8
        .value_kind:     by_value
      - .offset:         64
        .size:           8
        .value_kind:     by_value
      - .offset:         72
        .size:           8
        .value_kind:     by_value
      - .offset:         80
        .size:           4
        .value_kind:     hidden_block_count_x
      - .offset:         84
        .size:           4
        .value_kind:     hidden_block_count_y
      - .offset:         88
        .size:           4
        .value_kind:     hidden_block_count_z
      - .offset:         92
        .size:           2
        .value_kind:     hidden_group_size_x
      - .offset:         94
        .size:           2
        .value_kind:     hidden_group_size_y
      - .offset:         96
        .size:           2
        .value_kind:     hidden_group_size_z
      - .offset:         98
        .size:           2
        .value_kind:     hidden_remainder_x
      - .offset:         100
        .size:           2
        .value_kind:     hidden_remainder_y
      - .offset:         102
        .size:           2
        .value_kind:     hidden_remainder_z
      - .offset:         120
        .size:           8
        .value_kind:     hidden_global_offset_x
      - .offset:         128
        .size:           8
        .value_kind:     hidden_global_offset_y
      - .offset:         136
        .size:           8
        .value_kind:     hidden_global_offset_z
      - .offset:         144
        .size:           2
        .value_kind:     hidden_grid_dims
    .group_segment_fixed_size: 0
    .kernarg_segment_align: 8
    .kernarg_segment_size: 336
    .language:       OpenCL C
    .language_version:
      - 2
      - 0
    .max_flat_workgroup_size: 1024
    .name:           _ZL16dequantize_blockILi32ELi2EXadL_ZL15dequantize_q4_0PKvliR15HIP_vector_typeIfLj2EEEE6__halfEvS1_PT2_lllS2_IjLj3EElll
    .private_segment_fixed_size: 0
    .sgpr_count:     48
    .sgpr_spill_count: 0
    .symbol:         _ZL16dequantize_blockILi32ELi2EXadL_ZL15dequantize_q4_0PKvliR15HIP_vector_typeIfLj2EEEE6__halfEvS1_PT2_lllS2_IjLj3EElll.kd
    .uniform_work_group_size: 1
    .uses_dynamic_stack: false
    .vgpr_count:     11
    .vgpr_spill_count: 0
    .wavefront_size: 32
    .workgroup_processor_mode: 1
  - .args:
      - .actual_access:  read_only
        .address_space:  global
        .offset:         0
        .size:           8
        .value_kind:     global_buffer
      - .actual_access:  write_only
        .address_space:  global
        .offset:         8
        .size:           8
        .value_kind:     global_buffer
      - .offset:         16
        .size:           8
        .value_kind:     by_value
      - .offset:         24
        .size:           8
        .value_kind:     by_value
      - .offset:         32
        .size:           8
        .value_kind:     by_value
      - .offset:         40
        .size:           12
        .value_kind:     by_value
      - .offset:         56
        .size:           8
        .value_kind:     by_value
      - .offset:         64
        .size:           8
        .value_kind:     by_value
      - .offset:         72
        .size:           8
        .value_kind:     by_value
      - .offset:         80
        .size:           4
        .value_kind:     hidden_block_count_x
      - .offset:         84
        .size:           4
        .value_kind:     hidden_block_count_y
      - .offset:         88
        .size:           4
        .value_kind:     hidden_block_count_z
      - .offset:         92
        .size:           2
        .value_kind:     hidden_group_size_x
      - .offset:         94
        .size:           2
        .value_kind:     hidden_group_size_y
      - .offset:         96
        .size:           2
        .value_kind:     hidden_group_size_z
      - .offset:         98
        .size:           2
        .value_kind:     hidden_remainder_x
      - .offset:         100
        .size:           2
        .value_kind:     hidden_remainder_y
      - .offset:         102
        .size:           2
        .value_kind:     hidden_remainder_z
      - .offset:         120
        .size:           8
        .value_kind:     hidden_global_offset_x
      - .offset:         128
        .size:           8
        .value_kind:     hidden_global_offset_y
      - .offset:         136
        .size:           8
        .value_kind:     hidden_global_offset_z
      - .offset:         144
        .size:           2
        .value_kind:     hidden_grid_dims
    .group_segment_fixed_size: 0
    .kernarg_segment_align: 8
    .kernarg_segment_size: 336
    .language:       OpenCL C
    .language_version:
      - 2
      - 0
    .max_flat_workgroup_size: 1024
    .name:           _ZL16dequantize_blockILi32ELi2EXadL_ZL15dequantize_q4_1PKvliR15HIP_vector_typeIfLj2EEEE6__halfEvS1_PT2_lllS2_IjLj3EElll
    .private_segment_fixed_size: 0
    .sgpr_count:     48
    .sgpr_spill_count: 0
    .symbol:         _ZL16dequantize_blockILi32ELi2EXadL_ZL15dequantize_q4_1PKvliR15HIP_vector_typeIfLj2EEEE6__halfEvS1_PT2_lllS2_IjLj3EElll.kd
    .uniform_work_group_size: 1
    .uses_dynamic_stack: false
    .vgpr_count:     11
    .vgpr_spill_count: 0
    .wavefront_size: 32
    .workgroup_processor_mode: 1
  - .args:
      - .actual_access:  read_only
        .address_space:  global
        .offset:         0
        .size:           8
        .value_kind:     global_buffer
      - .actual_access:  write_only
        .address_space:  global
        .offset:         8
        .size:           8
        .value_kind:     global_buffer
      - .offset:         16
        .size:           8
        .value_kind:     by_value
      - .offset:         24
        .size:           8
        .value_kind:     by_value
      - .offset:         32
        .size:           8
        .value_kind:     by_value
      - .offset:         40
        .size:           12
        .value_kind:     by_value
      - .offset:         56
        .size:           8
        .value_kind:     by_value
      - .offset:         64
        .size:           8
        .value_kind:     by_value
      - .offset:         72
        .size:           8
        .value_kind:     by_value
      - .offset:         80
        .size:           4
        .value_kind:     hidden_block_count_x
      - .offset:         84
        .size:           4
        .value_kind:     hidden_block_count_y
      - .offset:         88
        .size:           4
        .value_kind:     hidden_block_count_z
      - .offset:         92
        .size:           2
        .value_kind:     hidden_group_size_x
      - .offset:         94
        .size:           2
        .value_kind:     hidden_group_size_y
      - .offset:         96
        .size:           2
        .value_kind:     hidden_group_size_z
      - .offset:         98
        .size:           2
        .value_kind:     hidden_remainder_x
      - .offset:         100
        .size:           2
        .value_kind:     hidden_remainder_y
      - .offset:         102
        .size:           2
        .value_kind:     hidden_remainder_z
      - .offset:         120
        .size:           8
        .value_kind:     hidden_global_offset_x
      - .offset:         128
        .size:           8
        .value_kind:     hidden_global_offset_y
      - .offset:         136
        .size:           8
        .value_kind:     hidden_global_offset_z
      - .offset:         144
        .size:           2
        .value_kind:     hidden_grid_dims
    .group_segment_fixed_size: 0
    .kernarg_segment_align: 8
    .kernarg_segment_size: 336
    .language:       OpenCL C
    .language_version:
      - 2
      - 0
    .max_flat_workgroup_size: 1024
    .name:           _ZL16dequantize_blockILi32ELi2EXadL_ZL15dequantize_q5_0PKvliR15HIP_vector_typeIfLj2EEEE6__halfEvS1_PT2_lllS2_IjLj3EElll
    .private_segment_fixed_size: 0
    .sgpr_count:     48
    .sgpr_spill_count: 0
    .symbol:         _ZL16dequantize_blockILi32ELi2EXadL_ZL15dequantize_q5_0PKvliR15HIP_vector_typeIfLj2EEEE6__halfEvS1_PT2_lllS2_IjLj3EElll.kd
    .uniform_work_group_size: 1
    .uses_dynamic_stack: false
    .vgpr_count:     13
    .vgpr_spill_count: 0
    .wavefront_size: 32
    .workgroup_processor_mode: 1
  - .args:
      - .actual_access:  read_only
        .address_space:  global
        .offset:         0
        .size:           8
        .value_kind:     global_buffer
      - .actual_access:  write_only
        .address_space:  global
        .offset:         8
        .size:           8
        .value_kind:     global_buffer
      - .offset:         16
        .size:           8
        .value_kind:     by_value
      - .offset:         24
        .size:           8
        .value_kind:     by_value
      - .offset:         32
        .size:           8
        .value_kind:     by_value
      - .offset:         40
        .size:           12
        .value_kind:     by_value
      - .offset:         56
        .size:           8
        .value_kind:     by_value
      - .offset:         64
        .size:           8
        .value_kind:     by_value
      - .offset:         72
        .size:           8
        .value_kind:     by_value
      - .offset:         80
        .size:           4
        .value_kind:     hidden_block_count_x
      - .offset:         84
        .size:           4
        .value_kind:     hidden_block_count_y
      - .offset:         88
        .size:           4
        .value_kind:     hidden_block_count_z
      - .offset:         92
        .size:           2
        .value_kind:     hidden_group_size_x
      - .offset:         94
        .size:           2
        .value_kind:     hidden_group_size_y
      - .offset:         96
        .size:           2
        .value_kind:     hidden_group_size_z
      - .offset:         98
        .size:           2
        .value_kind:     hidden_remainder_x
      - .offset:         100
        .size:           2
        .value_kind:     hidden_remainder_y
      - .offset:         102
        .size:           2
        .value_kind:     hidden_remainder_z
      - .offset:         120
        .size:           8
        .value_kind:     hidden_global_offset_x
      - .offset:         128
        .size:           8
        .value_kind:     hidden_global_offset_y
      - .offset:         136
        .size:           8
        .value_kind:     hidden_global_offset_z
      - .offset:         144
        .size:           2
        .value_kind:     hidden_grid_dims
    .group_segment_fixed_size: 0
    .kernarg_segment_align: 8
    .kernarg_segment_size: 336
    .language:       OpenCL C
    .language_version:
      - 2
      - 0
    .max_flat_workgroup_size: 1024
    .name:           _ZL16dequantize_blockILi32ELi2EXadL_ZL15dequantize_q5_1PKvliR15HIP_vector_typeIfLj2EEEE6__halfEvS1_PT2_lllS2_IjLj3EElll
    .private_segment_fixed_size: 0
    .sgpr_count:     48
    .sgpr_spill_count: 0
    .symbol:         _ZL16dequantize_blockILi32ELi2EXadL_ZL15dequantize_q5_1PKvliR15HIP_vector_typeIfLj2EEEE6__halfEvS1_PT2_lllS2_IjLj3EElll.kd
    .uniform_work_group_size: 1
    .uses_dynamic_stack: false
    .vgpr_count:     13
    .vgpr_spill_count: 0
    .wavefront_size: 32
    .workgroup_processor_mode: 1
  - .args:
      - .actual_access:  read_only
        .address_space:  global
        .offset:         0
        .size:           8
        .value_kind:     global_buffer
      - .actual_access:  write_only
        .address_space:  global
        .offset:         8
        .size:           8
        .value_kind:     global_buffer
      - .offset:         16
        .size:           8
        .value_kind:     by_value
      - .offset:         24
        .size:           8
        .value_kind:     by_value
      - .offset:         32
        .size:           8
        .value_kind:     by_value
      - .offset:         40
        .size:           12
        .value_kind:     by_value
      - .offset:         56
        .size:           8
        .value_kind:     by_value
      - .offset:         64
        .size:           8
        .value_kind:     by_value
      - .offset:         72
        .size:           8
        .value_kind:     by_value
      - .offset:         80
        .size:           4
        .value_kind:     hidden_block_count_x
      - .offset:         84
        .size:           4
        .value_kind:     hidden_block_count_y
      - .offset:         88
        .size:           4
        .value_kind:     hidden_block_count_z
      - .offset:         92
        .size:           2
        .value_kind:     hidden_group_size_x
      - .offset:         94
        .size:           2
        .value_kind:     hidden_group_size_y
      - .offset:         96
        .size:           2
        .value_kind:     hidden_group_size_z
      - .offset:         98
        .size:           2
        .value_kind:     hidden_remainder_x
      - .offset:         100
        .size:           2
        .value_kind:     hidden_remainder_y
      - .offset:         102
        .size:           2
        .value_kind:     hidden_remainder_z
      - .offset:         120
        .size:           8
        .value_kind:     hidden_global_offset_x
      - .offset:         128
        .size:           8
        .value_kind:     hidden_global_offset_y
      - .offset:         136
        .size:           8
        .value_kind:     hidden_global_offset_z
      - .offset:         144
        .size:           2
        .value_kind:     hidden_grid_dims
    .group_segment_fixed_size: 0
    .kernarg_segment_align: 8
    .kernarg_segment_size: 336
    .language:       OpenCL C
    .language_version:
      - 2
      - 0
    .max_flat_workgroup_size: 1024
    .name:           _ZL16dequantize_blockILi32ELi1EXadL_ZL15dequantize_q8_0PKvliR15HIP_vector_typeIfLj2EEEE6__halfEvS1_PT2_lllS2_IjLj3EElll
    .private_segment_fixed_size: 0
    .sgpr_count:     48
    .sgpr_spill_count: 0
    .symbol:         _ZL16dequantize_blockILi32ELi1EXadL_ZL15dequantize_q8_0PKvliR15HIP_vector_typeIfLj2EEEE6__halfEvS1_PT2_lllS2_IjLj3EElll.kd
    .uniform_work_group_size: 1
    .uses_dynamic_stack: false
    .vgpr_count:     11
    .vgpr_spill_count: 0
    .wavefront_size: 32
    .workgroup_processor_mode: 1
  - .args:
      - .actual_access:  read_only
        .address_space:  global
        .offset:         0
        .size:           8
        .value_kind:     global_buffer
      - .actual_access:  write_only
        .address_space:  global
        .offset:         8
        .size:           8
        .value_kind:     global_buffer
      - .offset:         16
        .size:           8
        .value_kind:     by_value
      - .offset:         24
        .size:           8
        .value_kind:     by_value
      - .offset:         32
        .size:           8
        .value_kind:     by_value
      - .offset:         40
        .size:           12
        .value_kind:     by_value
      - .offset:         56
        .size:           8
        .value_kind:     by_value
      - .offset:         64
        .size:           8
        .value_kind:     by_value
      - .offset:         72
        .size:           8
        .value_kind:     by_value
      - .offset:         80
        .size:           4
        .value_kind:     hidden_block_count_x
      - .offset:         84
        .size:           4
        .value_kind:     hidden_block_count_y
      - .offset:         88
        .size:           4
        .value_kind:     hidden_block_count_z
      - .offset:         92
        .size:           2
        .value_kind:     hidden_group_size_x
      - .offset:         94
        .size:           2
        .value_kind:     hidden_group_size_y
      - .offset:         96
        .size:           2
        .value_kind:     hidden_group_size_z
      - .offset:         98
        .size:           2
        .value_kind:     hidden_remainder_x
      - .offset:         100
        .size:           2
        .value_kind:     hidden_remainder_y
      - .offset:         102
        .size:           2
        .value_kind:     hidden_remainder_z
      - .offset:         120
        .size:           8
        .value_kind:     hidden_global_offset_x
      - .offset:         128
        .size:           8
        .value_kind:     hidden_global_offset_y
      - .offset:         136
        .size:           8
        .value_kind:     hidden_global_offset_z
      - .offset:         144
        .size:           2
        .value_kind:     hidden_grid_dims
    .group_segment_fixed_size: 0
    .kernarg_segment_align: 8
    .kernarg_segment_size: 336
    .language:       OpenCL C
    .language_version:
      - 2
      - 0
    .max_flat_workgroup_size: 1024
    .name:           _ZL13convert_unaryI14__hip_bfloat166__halfEvPKvPT0_lll15HIP_vector_typeIjLj3EElll
    .private_segment_fixed_size: 0
    .sgpr_count:     92
    .sgpr_spill_count: 0
    .symbol:         _ZL13convert_unaryI14__hip_bfloat166__halfEvPKvPT0_lll15HIP_vector_typeIjLj3EElll.kd
    .uniform_work_group_size: 1
    .uses_dynamic_stack: false
    .vgpr_count:     10
    .vgpr_spill_count: 0
    .wavefront_size: 32
    .workgroup_processor_mode: 1
  - .args:
      - .actual_access:  read_only
        .address_space:  global
        .offset:         0
        .size:           8
        .value_kind:     global_buffer
      - .actual_access:  write_only
        .address_space:  global
        .offset:         8
        .size:           8
        .value_kind:     global_buffer
      - .offset:         16
        .size:           8
        .value_kind:     by_value
      - .offset:         24
        .size:           8
        .value_kind:     by_value
      - .offset:         32
        .size:           8
        .value_kind:     by_value
      - .offset:         40
        .size:           12
        .value_kind:     by_value
      - .offset:         56
        .size:           8
        .value_kind:     by_value
      - .offset:         64
        .size:           8
        .value_kind:     by_value
      - .offset:         72
        .size:           8
        .value_kind:     by_value
      - .offset:         80
        .size:           4
        .value_kind:     hidden_block_count_x
      - .offset:         84
        .size:           4
        .value_kind:     hidden_block_count_y
      - .offset:         88
        .size:           4
        .value_kind:     hidden_block_count_z
      - .offset:         92
        .size:           2
        .value_kind:     hidden_group_size_x
      - .offset:         94
        .size:           2
        .value_kind:     hidden_group_size_y
      - .offset:         96
        .size:           2
        .value_kind:     hidden_group_size_z
      - .offset:         98
        .size:           2
        .value_kind:     hidden_remainder_x
      - .offset:         100
        .size:           2
        .value_kind:     hidden_remainder_y
      - .offset:         102
        .size:           2
        .value_kind:     hidden_remainder_z
      - .offset:         120
        .size:           8
        .value_kind:     hidden_global_offset_x
      - .offset:         128
        .size:           8
        .value_kind:     hidden_global_offset_y
      - .offset:         136
        .size:           8
        .value_kind:     hidden_global_offset_z
      - .offset:         144
        .size:           2
        .value_kind:     hidden_grid_dims
    .group_segment_fixed_size: 0
    .kernarg_segment_align: 8
    .kernarg_segment_size: 336
    .language:       OpenCL C
    .language_version:
      - 2
      - 0
    .max_flat_workgroup_size: 1024
    .name:           _ZL13convert_unaryIf14__hip_bfloat16EvPKvPT0_lll15HIP_vector_typeIjLj3EElll
    .private_segment_fixed_size: 0
    .sgpr_count:     48
    .sgpr_spill_count: 0
    .symbol:         _ZL13convert_unaryIf14__hip_bfloat16EvPKvPT0_lll15HIP_vector_typeIjLj3EElll.kd
    .uniform_work_group_size: 1
    .uses_dynamic_stack: false
    .vgpr_count:     9
    .vgpr_spill_count: 0
    .wavefront_size: 32
    .workgroup_processor_mode: 1
  - .args:
      - .actual_access:  read_only
        .address_space:  global
        .offset:         0
        .size:           8
        .value_kind:     global_buffer
      - .actual_access:  write_only
        .address_space:  global
        .offset:         8
        .size:           8
        .value_kind:     global_buffer
      - .offset:         16
        .size:           8
        .value_kind:     by_value
      - .offset:         24
        .size:           8
        .value_kind:     by_value
      - .offset:         32
        .size:           8
        .value_kind:     by_value
      - .offset:         40
        .size:           12
        .value_kind:     by_value
      - .offset:         56
        .size:           8
        .value_kind:     by_value
      - .offset:         64
        .size:           8
        .value_kind:     by_value
      - .offset:         72
        .size:           8
        .value_kind:     by_value
      - .offset:         80
        .size:           4
        .value_kind:     hidden_block_count_x
      - .offset:         84
        .size:           4
        .value_kind:     hidden_block_count_y
      - .offset:         88
        .size:           4
        .value_kind:     hidden_block_count_z
      - .offset:         92
        .size:           2
        .value_kind:     hidden_group_size_x
      - .offset:         94
        .size:           2
        .value_kind:     hidden_group_size_y
      - .offset:         96
        .size:           2
        .value_kind:     hidden_group_size_z
      - .offset:         98
        .size:           2
        .value_kind:     hidden_remainder_x
      - .offset:         100
        .size:           2
        .value_kind:     hidden_remainder_y
      - .offset:         102
        .size:           2
        .value_kind:     hidden_remainder_z
      - .offset:         120
        .size:           8
        .value_kind:     hidden_global_offset_x
      - .offset:         128
        .size:           8
        .value_kind:     hidden_global_offset_y
      - .offset:         136
        .size:           8
        .value_kind:     hidden_global_offset_z
      - .offset:         144
        .size:           2
        .value_kind:     hidden_grid_dims
    .group_segment_fixed_size: 0
    .kernarg_segment_align: 8
    .kernarg_segment_size: 336
    .language:       OpenCL C
    .language_version:
      - 2
      - 0
    .max_flat_workgroup_size: 1024
    .name:           _ZL16dequantize_blockILi128ELi1EXadL_ZL15dequantize_q1_0PKvliR15HIP_vector_typeIfLj2EEEE14__hip_bfloat16EvS1_PT2_lllS2_IjLj3EElll
    .private_segment_fixed_size: 0
    .sgpr_count:     46
    .sgpr_spill_count: 0
    .symbol:         _ZL16dequantize_blockILi128ELi1EXadL_ZL15dequantize_q1_0PKvliR15HIP_vector_typeIfLj2EEEE14__hip_bfloat16EvS1_PT2_lllS2_IjLj3EElll.kd
    .uniform_work_group_size: 1
    .uses_dynamic_stack: false
    .vgpr_count:     15
    .vgpr_spill_count: 0
    .wavefront_size: 32
    .workgroup_processor_mode: 1
  - .args:
      - .actual_access:  read_only
        .address_space:  global
        .offset:         0
        .size:           8
        .value_kind:     global_buffer
      - .actual_access:  write_only
        .address_space:  global
        .offset:         8
        .size:           8
        .value_kind:     global_buffer
      - .offset:         16
        .size:           8
        .value_kind:     by_value
      - .offset:         24
        .size:           8
        .value_kind:     by_value
      - .offset:         32
        .size:           8
        .value_kind:     by_value
      - .offset:         40
        .size:           12
        .value_kind:     by_value
      - .offset:         56
        .size:           8
        .value_kind:     by_value
      - .offset:         64
        .size:           8
        .value_kind:     by_value
      - .offset:         72
        .size:           8
        .value_kind:     by_value
      - .offset:         80
        .size:           4
        .value_kind:     hidden_block_count_x
      - .offset:         84
        .size:           4
        .value_kind:     hidden_block_count_y
      - .offset:         88
        .size:           4
        .value_kind:     hidden_block_count_z
      - .offset:         92
        .size:           2
        .value_kind:     hidden_group_size_x
      - .offset:         94
        .size:           2
        .value_kind:     hidden_group_size_y
      - .offset:         96
        .size:           2
        .value_kind:     hidden_group_size_z
      - .offset:         98
        .size:           2
        .value_kind:     hidden_remainder_x
      - .offset:         100
        .size:           2
        .value_kind:     hidden_remainder_y
      - .offset:         102
        .size:           2
        .value_kind:     hidden_remainder_z
      - .offset:         120
        .size:           8
        .value_kind:     hidden_global_offset_x
      - .offset:         128
        .size:           8
        .value_kind:     hidden_global_offset_y
      - .offset:         136
        .size:           8
        .value_kind:     hidden_global_offset_z
      - .offset:         144
        .size:           2
        .value_kind:     hidden_grid_dims
    .group_segment_fixed_size: 0
    .kernarg_segment_align: 8
    .kernarg_segment_size: 336
    .language:       OpenCL C
    .language_version:
      - 2
      - 0
    .max_flat_workgroup_size: 1024
    .name:           _ZL16dequantize_blockILi32ELi2EXadL_ZL15dequantize_q4_0PKvliR15HIP_vector_typeIfLj2EEEE14__hip_bfloat16EvS1_PT2_lllS2_IjLj3EElll
    .private_segment_fixed_size: 0
    .sgpr_count:     46
    .sgpr_spill_count: 0
    .symbol:         _ZL16dequantize_blockILi32ELi2EXadL_ZL15dequantize_q4_0PKvliR15HIP_vector_typeIfLj2EEEE14__hip_bfloat16EvS1_PT2_lllS2_IjLj3EElll.kd
    .uniform_work_group_size: 1
    .uses_dynamic_stack: false
    .vgpr_count:     13
    .vgpr_spill_count: 0
    .wavefront_size: 32
    .workgroup_processor_mode: 1
  - .args:
      - .actual_access:  read_only
        .address_space:  global
        .offset:         0
        .size:           8
        .value_kind:     global_buffer
      - .actual_access:  write_only
        .address_space:  global
        .offset:         8
        .size:           8
        .value_kind:     global_buffer
      - .offset:         16
        .size:           8
        .value_kind:     by_value
      - .offset:         24
        .size:           8
        .value_kind:     by_value
      - .offset:         32
        .size:           8
        .value_kind:     by_value
      - .offset:         40
        .size:           12
        .value_kind:     by_value
      - .offset:         56
        .size:           8
        .value_kind:     by_value
      - .offset:         64
        .size:           8
        .value_kind:     by_value
      - .offset:         72
        .size:           8
        .value_kind:     by_value
      - .offset:         80
        .size:           4
        .value_kind:     hidden_block_count_x
      - .offset:         84
        .size:           4
        .value_kind:     hidden_block_count_y
      - .offset:         88
        .size:           4
        .value_kind:     hidden_block_count_z
      - .offset:         92
        .size:           2
        .value_kind:     hidden_group_size_x
      - .offset:         94
        .size:           2
        .value_kind:     hidden_group_size_y
      - .offset:         96
        .size:           2
        .value_kind:     hidden_group_size_z
      - .offset:         98
        .size:           2
        .value_kind:     hidden_remainder_x
      - .offset:         100
        .size:           2
        .value_kind:     hidden_remainder_y
      - .offset:         102
        .size:           2
        .value_kind:     hidden_remainder_z
      - .offset:         120
        .size:           8
        .value_kind:     hidden_global_offset_x
      - .offset:         128
        .size:           8
        .value_kind:     hidden_global_offset_y
      - .offset:         136
        .size:           8
        .value_kind:     hidden_global_offset_z
      - .offset:         144
        .size:           2
        .value_kind:     hidden_grid_dims
    .group_segment_fixed_size: 0
    .kernarg_segment_align: 8
    .kernarg_segment_size: 336
    .language:       OpenCL C
    .language_version:
      - 2
      - 0
    .max_flat_workgroup_size: 1024
    .name:           _ZL16dequantize_blockILi32ELi2EXadL_ZL15dequantize_q4_1PKvliR15HIP_vector_typeIfLj2EEEE14__hip_bfloat16EvS1_PT2_lllS2_IjLj3EElll
    .private_segment_fixed_size: 0
    .sgpr_count:     46
    .sgpr_spill_count: 0
    .symbol:         _ZL16dequantize_blockILi32ELi2EXadL_ZL15dequantize_q4_1PKvliR15HIP_vector_typeIfLj2EEEE14__hip_bfloat16EvS1_PT2_lllS2_IjLj3EElll.kd
    .uniform_work_group_size: 1
    .uses_dynamic_stack: false
    .vgpr_count:     13
    .vgpr_spill_count: 0
    .wavefront_size: 32
    .workgroup_processor_mode: 1
  - .args:
      - .actual_access:  read_only
        .address_space:  global
        .offset:         0
        .size:           8
        .value_kind:     global_buffer
      - .actual_access:  write_only
        .address_space:  global
        .offset:         8
        .size:           8
        .value_kind:     global_buffer
      - .offset:         16
        .size:           8
        .value_kind:     by_value
      - .offset:         24
        .size:           8
        .value_kind:     by_value
      - .offset:         32
        .size:           8
        .value_kind:     by_value
      - .offset:         40
        .size:           12
        .value_kind:     by_value
      - .offset:         56
        .size:           8
        .value_kind:     by_value
      - .offset:         64
        .size:           8
        .value_kind:     by_value
      - .offset:         72
        .size:           8
        .value_kind:     by_value
      - .offset:         80
        .size:           4
        .value_kind:     hidden_block_count_x
      - .offset:         84
        .size:           4
        .value_kind:     hidden_block_count_y
      - .offset:         88
        .size:           4
        .value_kind:     hidden_block_count_z
      - .offset:         92
        .size:           2
        .value_kind:     hidden_group_size_x
      - .offset:         94
        .size:           2
        .value_kind:     hidden_group_size_y
      - .offset:         96
        .size:           2
        .value_kind:     hidden_group_size_z
      - .offset:         98
        .size:           2
        .value_kind:     hidden_remainder_x
      - .offset:         100
        .size:           2
        .value_kind:     hidden_remainder_y
      - .offset:         102
        .size:           2
        .value_kind:     hidden_remainder_z
      - .offset:         120
        .size:           8
        .value_kind:     hidden_global_offset_x
      - .offset:         128
        .size:           8
        .value_kind:     hidden_global_offset_y
      - .offset:         136
        .size:           8
        .value_kind:     hidden_global_offset_z
      - .offset:         144
        .size:           2
        .value_kind:     hidden_grid_dims
    .group_segment_fixed_size: 0
    .kernarg_segment_align: 8
    .kernarg_segment_size: 336
    .language:       OpenCL C
    .language_version:
      - 2
      - 0
    .max_flat_workgroup_size: 1024
    .name:           _ZL16dequantize_blockILi32ELi2EXadL_ZL15dequantize_q5_0PKvliR15HIP_vector_typeIfLj2EEEE14__hip_bfloat16EvS1_PT2_lllS2_IjLj3EElll
    .private_segment_fixed_size: 0
    .sgpr_count:     48
    .sgpr_spill_count: 0
    .symbol:         _ZL16dequantize_blockILi32ELi2EXadL_ZL15dequantize_q5_0PKvliR15HIP_vector_typeIfLj2EEEE14__hip_bfloat16EvS1_PT2_lllS2_IjLj3EElll.kd
    .uniform_work_group_size: 1
    .uses_dynamic_stack: false
    .vgpr_count:     14
    .vgpr_spill_count: 0
    .wavefront_size: 32
    .workgroup_processor_mode: 1
  - .args:
      - .actual_access:  read_only
        .address_space:  global
        .offset:         0
        .size:           8
        .value_kind:     global_buffer
      - .actual_access:  write_only
        .address_space:  global
        .offset:         8
        .size:           8
        .value_kind:     global_buffer
      - .offset:         16
        .size:           8
        .value_kind:     by_value
      - .offset:         24
        .size:           8
        .value_kind:     by_value
      - .offset:         32
        .size:           8
        .value_kind:     by_value
      - .offset:         40
        .size:           12
        .value_kind:     by_value
      - .offset:         56
        .size:           8
        .value_kind:     by_value
      - .offset:         64
        .size:           8
        .value_kind:     by_value
      - .offset:         72
        .size:           8
        .value_kind:     by_value
      - .offset:         80
        .size:           4
        .value_kind:     hidden_block_count_x
      - .offset:         84
        .size:           4
        .value_kind:     hidden_block_count_y
      - .offset:         88
        .size:           4
        .value_kind:     hidden_block_count_z
      - .offset:         92
        .size:           2
        .value_kind:     hidden_group_size_x
      - .offset:         94
        .size:           2
        .value_kind:     hidden_group_size_y
      - .offset:         96
        .size:           2
        .value_kind:     hidden_group_size_z
      - .offset:         98
        .size:           2
        .value_kind:     hidden_remainder_x
      - .offset:         100
        .size:           2
        .value_kind:     hidden_remainder_y
      - .offset:         102
        .size:           2
        .value_kind:     hidden_remainder_z
      - .offset:         120
        .size:           8
        .value_kind:     hidden_global_offset_x
      - .offset:         128
        .size:           8
        .value_kind:     hidden_global_offset_y
      - .offset:         136
        .size:           8
        .value_kind:     hidden_global_offset_z
      - .offset:         144
        .size:           2
        .value_kind:     hidden_grid_dims
    .group_segment_fixed_size: 0
    .kernarg_segment_align: 8
    .kernarg_segment_size: 336
    .language:       OpenCL C
    .language_version:
      - 2
      - 0
    .max_flat_workgroup_size: 1024
    .name:           _ZL16dequantize_blockILi32ELi2EXadL_ZL15dequantize_q5_1PKvliR15HIP_vector_typeIfLj2EEEE14__hip_bfloat16EvS1_PT2_lllS2_IjLj3EElll
    .private_segment_fixed_size: 0
    .sgpr_count:     48
    .sgpr_spill_count: 0
    .symbol:         _ZL16dequantize_blockILi32ELi2EXadL_ZL15dequantize_q5_1PKvliR15HIP_vector_typeIfLj2EEEE14__hip_bfloat16EvS1_PT2_lllS2_IjLj3EElll.kd
    .uniform_work_group_size: 1
    .uses_dynamic_stack: false
    .vgpr_count:     14
    .vgpr_spill_count: 0
    .wavefront_size: 32
    .workgroup_processor_mode: 1
  - .args:
      - .actual_access:  read_only
        .address_space:  global
        .offset:         0
        .size:           8
        .value_kind:     global_buffer
      - .actual_access:  write_only
        .address_space:  global
        .offset:         8
        .size:           8
        .value_kind:     global_buffer
      - .offset:         16
        .size:           8
        .value_kind:     by_value
      - .offset:         24
        .size:           8
        .value_kind:     by_value
      - .offset:         32
        .size:           8
        .value_kind:     by_value
      - .offset:         40
        .size:           12
        .value_kind:     by_value
      - .offset:         56
        .size:           8
        .value_kind:     by_value
      - .offset:         64
        .size:           8
        .value_kind:     by_value
      - .offset:         72
        .size:           8
        .value_kind:     by_value
      - .offset:         80
        .size:           4
        .value_kind:     hidden_block_count_x
      - .offset:         84
        .size:           4
        .value_kind:     hidden_block_count_y
      - .offset:         88
        .size:           4
        .value_kind:     hidden_block_count_z
      - .offset:         92
        .size:           2
        .value_kind:     hidden_group_size_x
      - .offset:         94
        .size:           2
        .value_kind:     hidden_group_size_y
      - .offset:         96
        .size:           2
        .value_kind:     hidden_group_size_z
      - .offset:         98
        .size:           2
        .value_kind:     hidden_remainder_x
      - .offset:         100
        .size:           2
        .value_kind:     hidden_remainder_y
      - .offset:         102
        .size:           2
        .value_kind:     hidden_remainder_z
      - .offset:         120
        .size:           8
        .value_kind:     hidden_global_offset_x
      - .offset:         128
        .size:           8
        .value_kind:     hidden_global_offset_y
      - .offset:         136
        .size:           8
        .value_kind:     hidden_global_offset_z
      - .offset:         144
        .size:           2
        .value_kind:     hidden_grid_dims
    .group_segment_fixed_size: 0
    .kernarg_segment_align: 8
    .kernarg_segment_size: 336
    .language:       OpenCL C
    .language_version:
      - 2
      - 0
    .max_flat_workgroup_size: 1024
    .name:           _ZL16dequantize_blockILi32ELi1EXadL_ZL15dequantize_q8_0PKvliR15HIP_vector_typeIfLj2EEEE14__hip_bfloat16EvS1_PT2_lllS2_IjLj3EElll
    .private_segment_fixed_size: 0
    .sgpr_count:     46
    .sgpr_spill_count: 0
    .symbol:         _ZL16dequantize_blockILi32ELi1EXadL_ZL15dequantize_q8_0PKvliR15HIP_vector_typeIfLj2EEEE14__hip_bfloat16EvS1_PT2_lllS2_IjLj3EElll.kd
    .uniform_work_group_size: 1
    .uses_dynamic_stack: false
    .vgpr_count:     13
    .vgpr_spill_count: 0
    .wavefront_size: 32
    .workgroup_processor_mode: 1
  - .args:
      - .actual_access:  read_only
        .address_space:  global
        .offset:         0
        .size:           8
        .value_kind:     global_buffer
      - .actual_access:  write_only
        .address_space:  global
        .offset:         8
        .size:           8
        .value_kind:     global_buffer
      - .offset:         16
        .size:           8
        .value_kind:     by_value
      - .offset:         24
        .size:           8
        .value_kind:     by_value
      - .offset:         32
        .size:           8
        .value_kind:     by_value
      - .offset:         40
        .size:           12
        .value_kind:     by_value
      - .offset:         56
        .size:           8
        .value_kind:     by_value
      - .offset:         64
        .size:           8
        .value_kind:     by_value
      - .offset:         72
        .size:           8
        .value_kind:     by_value
      - .offset:         80
        .size:           4
        .value_kind:     hidden_block_count_x
      - .offset:         84
        .size:           4
        .value_kind:     hidden_block_count_y
      - .offset:         88
        .size:           4
        .value_kind:     hidden_block_count_z
      - .offset:         92
        .size:           2
        .value_kind:     hidden_group_size_x
      - .offset:         94
        .size:           2
        .value_kind:     hidden_group_size_y
      - .offset:         96
        .size:           2
        .value_kind:     hidden_group_size_z
      - .offset:         98
        .size:           2
        .value_kind:     hidden_remainder_x
      - .offset:         100
        .size:           2
        .value_kind:     hidden_remainder_y
      - .offset:         102
        .size:           2
        .value_kind:     hidden_remainder_z
      - .offset:         120
        .size:           8
        .value_kind:     hidden_global_offset_x
      - .offset:         128
        .size:           8
        .value_kind:     hidden_global_offset_y
      - .offset:         136
        .size:           8
        .value_kind:     hidden_global_offset_z
      - .offset:         144
        .size:           2
        .value_kind:     hidden_grid_dims
    .group_segment_fixed_size: 0
    .kernarg_segment_align: 8
    .kernarg_segment_size: 336
    .language:       OpenCL C
    .language_version:
      - 2
      - 0
    .max_flat_workgroup_size: 1024
    .name:           _ZL13convert_unaryI6__half14__hip_bfloat16EvPKvPT0_lll15HIP_vector_typeIjLj3EElll
    .private_segment_fixed_size: 0
    .sgpr_count:     92
    .sgpr_spill_count: 0
    .symbol:         _ZL13convert_unaryI6__half14__hip_bfloat16EvPKvPT0_lll15HIP_vector_typeIjLj3EElll.kd
    .uniform_work_group_size: 1
    .uses_dynamic_stack: false
    .vgpr_count:     14
    .vgpr_spill_count: 0
    .wavefront_size: 32
    .workgroup_processor_mode: 1
  - .args:
      - .actual_access:  read_only
        .address_space:  global
        .offset:         0
        .size:           8
        .value_kind:     global_buffer
      - .actual_access:  write_only
        .address_space:  global
        .offset:         8
        .size:           8
        .value_kind:     global_buffer
      - .offset:         16
        .size:           8
        .value_kind:     by_value
      - .offset:         24
        .size:           8
        .value_kind:     by_value
      - .offset:         32
        .size:           8
        .value_kind:     by_value
      - .offset:         40
        .size:           12
        .value_kind:     by_value
      - .offset:         56
        .size:           8
        .value_kind:     by_value
      - .offset:         64
        .size:           8
        .value_kind:     by_value
      - .offset:         72
        .size:           8
        .value_kind:     by_value
      - .offset:         80
        .size:           4
        .value_kind:     hidden_block_count_x
      - .offset:         84
        .size:           4
        .value_kind:     hidden_block_count_y
      - .offset:         88
        .size:           4
        .value_kind:     hidden_block_count_z
      - .offset:         92
        .size:           2
        .value_kind:     hidden_group_size_x
      - .offset:         94
        .size:           2
        .value_kind:     hidden_group_size_y
      - .offset:         96
        .size:           2
        .value_kind:     hidden_group_size_z
      - .offset:         98
        .size:           2
        .value_kind:     hidden_remainder_x
      - .offset:         100
        .size:           2
        .value_kind:     hidden_remainder_y
      - .offset:         102
        .size:           2
        .value_kind:     hidden_remainder_z
      - .offset:         120
        .size:           8
        .value_kind:     hidden_global_offset_x
      - .offset:         128
        .size:           8
        .value_kind:     hidden_global_offset_y
      - .offset:         136
        .size:           8
        .value_kind:     hidden_global_offset_z
      - .offset:         144
        .size:           2
        .value_kind:     hidden_grid_dims
    .group_segment_fixed_size: 0
    .kernarg_segment_align: 8
    .kernarg_segment_size: 336
    .language:       OpenCL C
    .language_version:
      - 2
      - 0
    .max_flat_workgroup_size: 1024
    .name:           _ZL13convert_unaryI6__halffEvPKvPT0_lll15HIP_vector_typeIjLj3EElll
    .private_segment_fixed_size: 0
    .sgpr_count:     48
    .sgpr_spill_count: 0
    .symbol:         _ZL13convert_unaryI6__halffEvPKvPT0_lll15HIP_vector_typeIjLj3EElll.kd
    .uniform_work_group_size: 1
    .uses_dynamic_stack: false
    .vgpr_count:     8
    .vgpr_spill_count: 0
    .wavefront_size: 32
    .workgroup_processor_mode: 1
  - .args:
      - .actual_access:  read_only
        .address_space:  global
        .offset:         0
        .size:           8
        .value_kind:     global_buffer
      - .actual_access:  write_only
        .address_space:  global
        .offset:         8
        .size:           8
        .value_kind:     global_buffer
      - .offset:         16
        .size:           8
        .value_kind:     by_value
      - .offset:         24
        .size:           8
        .value_kind:     by_value
      - .offset:         32
        .size:           8
        .value_kind:     by_value
      - .offset:         40
        .size:           12
        .value_kind:     by_value
      - .offset:         56
        .size:           8
        .value_kind:     by_value
      - .offset:         64
        .size:           8
        .value_kind:     by_value
      - .offset:         72
        .size:           8
        .value_kind:     by_value
      - .offset:         80
        .size:           4
        .value_kind:     hidden_block_count_x
      - .offset:         84
        .size:           4
        .value_kind:     hidden_block_count_y
      - .offset:         88
        .size:           4
        .value_kind:     hidden_block_count_z
      - .offset:         92
        .size:           2
        .value_kind:     hidden_group_size_x
      - .offset:         94
        .size:           2
        .value_kind:     hidden_group_size_y
      - .offset:         96
        .size:           2
        .value_kind:     hidden_group_size_z
      - .offset:         98
        .size:           2
        .value_kind:     hidden_remainder_x
      - .offset:         100
        .size:           2
        .value_kind:     hidden_remainder_y
      - .offset:         102
        .size:           2
        .value_kind:     hidden_remainder_z
      - .offset:         120
        .size:           8
        .value_kind:     hidden_global_offset_x
      - .offset:         128
        .size:           8
        .value_kind:     hidden_global_offset_y
      - .offset:         136
        .size:           8
        .value_kind:     hidden_global_offset_z
      - .offset:         144
        .size:           2
        .value_kind:     hidden_grid_dims
    .group_segment_fixed_size: 0
    .kernarg_segment_align: 8
    .kernarg_segment_size: 336
    .language:       OpenCL C
    .language_version:
      - 2
      - 0
    .max_flat_workgroup_size: 1024
    .name:           _ZL16dequantize_blockILi128ELi1EXadL_ZL15dequantize_q1_0PKvliR15HIP_vector_typeIfLj2EEEEfEvS1_PT2_lllS2_IjLj3EElll
    .private_segment_fixed_size: 0
    .sgpr_count:     48
    .sgpr_spill_count: 0
    .symbol:         _ZL16dequantize_blockILi128ELi1EXadL_ZL15dequantize_q1_0PKvliR15HIP_vector_typeIfLj2EEEEfEvS1_PT2_lllS2_IjLj3EElll.kd
    .uniform_work_group_size: 1
    .uses_dynamic_stack: false
    .vgpr_count:     13
    .vgpr_spill_count: 0
    .wavefront_size: 32
    .workgroup_processor_mode: 1
  - .args:
      - .actual_access:  read_only
        .address_space:  global
        .offset:         0
        .size:           8
        .value_kind:     global_buffer
      - .actual_access:  write_only
        .address_space:  global
        .offset:         8
        .size:           8
        .value_kind:     global_buffer
      - .offset:         16
        .size:           8
        .value_kind:     by_value
      - .offset:         24
        .size:           8
        .value_kind:     by_value
      - .offset:         32
        .size:           8
        .value_kind:     by_value
      - .offset:         40
        .size:           12
        .value_kind:     by_value
      - .offset:         56
        .size:           8
        .value_kind:     by_value
      - .offset:         64
        .size:           8
        .value_kind:     by_value
      - .offset:         72
        .size:           8
        .value_kind:     by_value
      - .offset:         80
        .size:           4
        .value_kind:     hidden_block_count_x
      - .offset:         84
        .size:           4
        .value_kind:     hidden_block_count_y
      - .offset:         88
        .size:           4
        .value_kind:     hidden_block_count_z
      - .offset:         92
        .size:           2
        .value_kind:     hidden_group_size_x
      - .offset:         94
        .size:           2
        .value_kind:     hidden_group_size_y
      - .offset:         96
        .size:           2
        .value_kind:     hidden_group_size_z
      - .offset:         98
        .size:           2
        .value_kind:     hidden_remainder_x
      - .offset:         100
        .size:           2
        .value_kind:     hidden_remainder_y
      - .offset:         102
        .size:           2
        .value_kind:     hidden_remainder_z
      - .offset:         120
        .size:           8
        .value_kind:     hidden_global_offset_x
      - .offset:         128
        .size:           8
        .value_kind:     hidden_global_offset_y
      - .offset:         136
        .size:           8
        .value_kind:     hidden_global_offset_z
      - .offset:         144
        .size:           2
        .value_kind:     hidden_grid_dims
    .group_segment_fixed_size: 0
    .kernarg_segment_align: 8
    .kernarg_segment_size: 336
    .language:       OpenCL C
    .language_version:
      - 2
      - 0
    .max_flat_workgroup_size: 1024
    .name:           _ZL16dequantize_blockILi32ELi2EXadL_ZL15dequantize_q4_0PKvliR15HIP_vector_typeIfLj2EEEEfEvS1_PT2_lllS2_IjLj3EElll
    .private_segment_fixed_size: 0
    .sgpr_count:     48
    .sgpr_spill_count: 0
    .symbol:         _ZL16dequantize_blockILi32ELi2EXadL_ZL15dequantize_q4_0PKvliR15HIP_vector_typeIfLj2EEEEfEvS1_PT2_lllS2_IjLj3EElll.kd
    .uniform_work_group_size: 1
    .uses_dynamic_stack: false
    .vgpr_count:     11
    .vgpr_spill_count: 0
    .wavefront_size: 32
    .workgroup_processor_mode: 1
  - .args:
      - .actual_access:  read_only
        .address_space:  global
        .offset:         0
        .size:           8
        .value_kind:     global_buffer
      - .actual_access:  write_only
        .address_space:  global
        .offset:         8
        .size:           8
        .value_kind:     global_buffer
      - .offset:         16
        .size:           8
        .value_kind:     by_value
      - .offset:         24
        .size:           8
        .value_kind:     by_value
      - .offset:         32
        .size:           8
        .value_kind:     by_value
      - .offset:         40
        .size:           12
        .value_kind:     by_value
      - .offset:         56
        .size:           8
        .value_kind:     by_value
      - .offset:         64
        .size:           8
        .value_kind:     by_value
      - .offset:         72
        .size:           8
        .value_kind:     by_value
      - .offset:         80
        .size:           4
        .value_kind:     hidden_block_count_x
      - .offset:         84
        .size:           4
        .value_kind:     hidden_block_count_y
      - .offset:         88
        .size:           4
        .value_kind:     hidden_block_count_z
      - .offset:         92
        .size:           2
        .value_kind:     hidden_group_size_x
      - .offset:         94
        .size:           2
        .value_kind:     hidden_group_size_y
      - .offset:         96
        .size:           2
        .value_kind:     hidden_group_size_z
      - .offset:         98
        .size:           2
        .value_kind:     hidden_remainder_x
      - .offset:         100
        .size:           2
        .value_kind:     hidden_remainder_y
      - .offset:         102
        .size:           2
        .value_kind:     hidden_remainder_z
      - .offset:         120
        .size:           8
        .value_kind:     hidden_global_offset_x
      - .offset:         128
        .size:           8
        .value_kind:     hidden_global_offset_y
      - .offset:         136
        .size:           8
        .value_kind:     hidden_global_offset_z
      - .offset:         144
        .size:           2
        .value_kind:     hidden_grid_dims
    .group_segment_fixed_size: 0
    .kernarg_segment_align: 8
    .kernarg_segment_size: 336
    .language:       OpenCL C
    .language_version:
      - 2
      - 0
    .max_flat_workgroup_size: 1024
    .name:           _ZL16dequantize_blockILi32ELi2EXadL_ZL15dequantize_q4_1PKvliR15HIP_vector_typeIfLj2EEEEfEvS1_PT2_lllS2_IjLj3EElll
    .private_segment_fixed_size: 0
    .sgpr_count:     48
    .sgpr_spill_count: 0
    .symbol:         _ZL16dequantize_blockILi32ELi2EXadL_ZL15dequantize_q4_1PKvliR15HIP_vector_typeIfLj2EEEEfEvS1_PT2_lllS2_IjLj3EElll.kd
    .uniform_work_group_size: 1
    .uses_dynamic_stack: false
    .vgpr_count:     11
    .vgpr_spill_count: 0
    .wavefront_size: 32
    .workgroup_processor_mode: 1
  - .args:
      - .actual_access:  read_only
        .address_space:  global
        .offset:         0
        .size:           8
        .value_kind:     global_buffer
      - .actual_access:  write_only
        .address_space:  global
        .offset:         8
        .size:           8
        .value_kind:     global_buffer
      - .offset:         16
        .size:           8
        .value_kind:     by_value
      - .offset:         24
        .size:           8
        .value_kind:     by_value
      - .offset:         32
        .size:           8
        .value_kind:     by_value
      - .offset:         40
        .size:           12
        .value_kind:     by_value
      - .offset:         56
        .size:           8
        .value_kind:     by_value
      - .offset:         64
        .size:           8
        .value_kind:     by_value
      - .offset:         72
        .size:           8
        .value_kind:     by_value
      - .offset:         80
        .size:           4
        .value_kind:     hidden_block_count_x
      - .offset:         84
        .size:           4
        .value_kind:     hidden_block_count_y
      - .offset:         88
        .size:           4
        .value_kind:     hidden_block_count_z
      - .offset:         92
        .size:           2
        .value_kind:     hidden_group_size_x
      - .offset:         94
        .size:           2
        .value_kind:     hidden_group_size_y
      - .offset:         96
        .size:           2
        .value_kind:     hidden_group_size_z
      - .offset:         98
        .size:           2
        .value_kind:     hidden_remainder_x
      - .offset:         100
        .size:           2
        .value_kind:     hidden_remainder_y
      - .offset:         102
        .size:           2
        .value_kind:     hidden_remainder_z
      - .offset:         120
        .size:           8
        .value_kind:     hidden_global_offset_x
      - .offset:         128
        .size:           8
        .value_kind:     hidden_global_offset_y
      - .offset:         136
        .size:           8
        .value_kind:     hidden_global_offset_z
      - .offset:         144
        .size:           2
        .value_kind:     hidden_grid_dims
    .group_segment_fixed_size: 0
    .kernarg_segment_align: 8
    .kernarg_segment_size: 336
    .language:       OpenCL C
    .language_version:
      - 2
      - 0
    .max_flat_workgroup_size: 1024
    .name:           _ZL16dequantize_blockILi32ELi2EXadL_ZL15dequantize_q5_0PKvliR15HIP_vector_typeIfLj2EEEEfEvS1_PT2_lllS2_IjLj3EElll
    .private_segment_fixed_size: 0
    .sgpr_count:     48
    .sgpr_spill_count: 0
    .symbol:         _ZL16dequantize_blockILi32ELi2EXadL_ZL15dequantize_q5_0PKvliR15HIP_vector_typeIfLj2EEEEfEvS1_PT2_lllS2_IjLj3EElll.kd
    .uniform_work_group_size: 1
    .uses_dynamic_stack: false
    .vgpr_count:     13
    .vgpr_spill_count: 0
    .wavefront_size: 32
    .workgroup_processor_mode: 1
  - .args:
      - .actual_access:  read_only
        .address_space:  global
        .offset:         0
        .size:           8
        .value_kind:     global_buffer
      - .actual_access:  write_only
        .address_space:  global
        .offset:         8
        .size:           8
        .value_kind:     global_buffer
      - .offset:         16
        .size:           8
        .value_kind:     by_value
      - .offset:         24
        .size:           8
        .value_kind:     by_value
      - .offset:         32
        .size:           8
        .value_kind:     by_value
      - .offset:         40
        .size:           12
        .value_kind:     by_value
      - .offset:         56
        .size:           8
        .value_kind:     by_value
      - .offset:         64
        .size:           8
        .value_kind:     by_value
      - .offset:         72
        .size:           8
        .value_kind:     by_value
      - .offset:         80
        .size:           4
        .value_kind:     hidden_block_count_x
      - .offset:         84
        .size:           4
        .value_kind:     hidden_block_count_y
      - .offset:         88
        .size:           4
        .value_kind:     hidden_block_count_z
      - .offset:         92
        .size:           2
        .value_kind:     hidden_group_size_x
      - .offset:         94
        .size:           2
        .value_kind:     hidden_group_size_y
      - .offset:         96
        .size:           2
        .value_kind:     hidden_group_size_z
      - .offset:         98
        .size:           2
        .value_kind:     hidden_remainder_x
      - .offset:         100
        .size:           2
        .value_kind:     hidden_remainder_y
      - .offset:         102
        .size:           2
        .value_kind:     hidden_remainder_z
      - .offset:         120
        .size:           8
        .value_kind:     hidden_global_offset_x
      - .offset:         128
        .size:           8
        .value_kind:     hidden_global_offset_y
      - .offset:         136
        .size:           8
        .value_kind:     hidden_global_offset_z
      - .offset:         144
        .size:           2
        .value_kind:     hidden_grid_dims
    .group_segment_fixed_size: 0
    .kernarg_segment_align: 8
    .kernarg_segment_size: 336
    .language:       OpenCL C
    .language_version:
      - 2
      - 0
    .max_flat_workgroup_size: 1024
    .name:           _ZL16dequantize_blockILi32ELi2EXadL_ZL15dequantize_q5_1PKvliR15HIP_vector_typeIfLj2EEEEfEvS1_PT2_lllS2_IjLj3EElll
    .private_segment_fixed_size: 0
    .sgpr_count:     48
    .sgpr_spill_count: 0
    .symbol:         _ZL16dequantize_blockILi32ELi2EXadL_ZL15dequantize_q5_1PKvliR15HIP_vector_typeIfLj2EEEEfEvS1_PT2_lllS2_IjLj3EElll.kd
    .uniform_work_group_size: 1
    .uses_dynamic_stack: false
    .vgpr_count:     13
    .vgpr_spill_count: 0
    .wavefront_size: 32
    .workgroup_processor_mode: 1
  - .args:
      - .actual_access:  read_only
        .address_space:  global
        .offset:         0
        .size:           8
        .value_kind:     global_buffer
      - .actual_access:  write_only
        .address_space:  global
        .offset:         8
        .size:           8
        .value_kind:     global_buffer
      - .offset:         16
        .size:           8
        .value_kind:     by_value
      - .offset:         24
        .size:           8
        .value_kind:     by_value
      - .offset:         32
        .size:           8
        .value_kind:     by_value
      - .offset:         40
        .size:           12
        .value_kind:     by_value
      - .offset:         56
        .size:           8
        .value_kind:     by_value
      - .offset:         64
        .size:           8
        .value_kind:     by_value
      - .offset:         72
        .size:           8
        .value_kind:     by_value
      - .offset:         80
        .size:           4
        .value_kind:     hidden_block_count_x
      - .offset:         84
        .size:           4
        .value_kind:     hidden_block_count_y
      - .offset:         88
        .size:           4
        .value_kind:     hidden_block_count_z
      - .offset:         92
        .size:           2
        .value_kind:     hidden_group_size_x
      - .offset:         94
        .size:           2
        .value_kind:     hidden_group_size_y
      - .offset:         96
        .size:           2
        .value_kind:     hidden_group_size_z
      - .offset:         98
        .size:           2
        .value_kind:     hidden_remainder_x
      - .offset:         100
        .size:           2
        .value_kind:     hidden_remainder_y
      - .offset:         102
        .size:           2
        .value_kind:     hidden_remainder_z
      - .offset:         120
        .size:           8
        .value_kind:     hidden_global_offset_x
      - .offset:         128
        .size:           8
        .value_kind:     hidden_global_offset_y
      - .offset:         136
        .size:           8
        .value_kind:     hidden_global_offset_z
      - .offset:         144
        .size:           2
        .value_kind:     hidden_grid_dims
    .group_segment_fixed_size: 0
    .kernarg_segment_align: 8
    .kernarg_segment_size: 336
    .language:       OpenCL C
    .language_version:
      - 2
      - 0
    .max_flat_workgroup_size: 1024
    .name:           _ZL16dequantize_blockILi32ELi1EXadL_ZL15dequantize_q8_0PKvliR15HIP_vector_typeIfLj2EEEEfEvS1_PT2_lllS2_IjLj3EElll
    .private_segment_fixed_size: 0
    .sgpr_count:     48
    .sgpr_spill_count: 0
    .symbol:         _ZL16dequantize_blockILi32ELi1EXadL_ZL15dequantize_q8_0PKvliR15HIP_vector_typeIfLj2EEEEfEvS1_PT2_lllS2_IjLj3EElll.kd
    .uniform_work_group_size: 1
    .uses_dynamic_stack: false
    .vgpr_count:     11
    .vgpr_spill_count: 0
    .wavefront_size: 32
    .workgroup_processor_mode: 1
  - .args:
      - .actual_access:  read_only
        .address_space:  global
        .offset:         0
        .size:           8
        .value_kind:     global_buffer
      - .actual_access:  write_only
        .address_space:  global
        .offset:         8
        .size:           8
        .value_kind:     global_buffer
      - .offset:         16
        .size:           8
        .value_kind:     by_value
      - .offset:         24
        .size:           8
        .value_kind:     by_value
      - .offset:         32
        .size:           8
        .value_kind:     by_value
      - .offset:         40
        .size:           12
        .value_kind:     by_value
      - .offset:         56
        .size:           8
        .value_kind:     by_value
      - .offset:         64
        .size:           8
        .value_kind:     by_value
      - .offset:         72
        .size:           8
        .value_kind:     by_value
      - .offset:         80
        .size:           4
        .value_kind:     hidden_block_count_x
      - .offset:         84
        .size:           4
        .value_kind:     hidden_block_count_y
      - .offset:         88
        .size:           4
        .value_kind:     hidden_block_count_z
      - .offset:         92
        .size:           2
        .value_kind:     hidden_group_size_x
      - .offset:         94
        .size:           2
        .value_kind:     hidden_group_size_y
      - .offset:         96
        .size:           2
        .value_kind:     hidden_group_size_z
      - .offset:         98
        .size:           2
        .value_kind:     hidden_remainder_x
      - .offset:         100
        .size:           2
        .value_kind:     hidden_remainder_y
      - .offset:         102
        .size:           2
        .value_kind:     hidden_remainder_z
      - .offset:         120
        .size:           8
        .value_kind:     hidden_global_offset_x
      - .offset:         128
        .size:           8
        .value_kind:     hidden_global_offset_y
      - .offset:         136
        .size:           8
        .value_kind:     hidden_global_offset_z
      - .offset:         144
        .size:           2
        .value_kind:     hidden_grid_dims
    .group_segment_fixed_size: 0
    .kernarg_segment_align: 8
    .kernarg_segment_size: 336
    .language:       OpenCL C
    .language_version:
      - 2
      - 0
    .max_flat_workgroup_size: 1024
    .name:           _ZL13convert_unaryI14__hip_bfloat16fEvPKvPT0_lll15HIP_vector_typeIjLj3EElll
    .private_segment_fixed_size: 0
    .sgpr_count:     48
    .sgpr_spill_count: 0
    .symbol:         _ZL13convert_unaryI14__hip_bfloat16fEvPKvPT0_lll15HIP_vector_typeIjLj3EElll.kd
    .uniform_work_group_size: 1
    .uses_dynamic_stack: false
    .vgpr_count:     8
    .vgpr_spill_count: 0
    .wavefront_size: 32
    .workgroup_processor_mode: 1
amdhsa.target:   amdgcn-amd-amdhsa--gfx1201
amdhsa.version:
  - 1
  - 2
...

	.end_amdgpu_metadata
